;; amdgpu-corpus repo=ROCm/rocFFT kind=compiled arch=gfx1201 opt=O3
	.text
	.amdgcn_target "amdgcn-amd-amdhsa--gfx1201"
	.amdhsa_code_object_version 6
	.protected	bluestein_single_back_len1134_dim1_half_op_CI_CI ; -- Begin function bluestein_single_back_len1134_dim1_half_op_CI_CI
	.globl	bluestein_single_back_len1134_dim1_half_op_CI_CI
	.p2align	8
	.type	bluestein_single_back_len1134_dim1_half_op_CI_CI,@function
bluestein_single_back_len1134_dim1_half_op_CI_CI: ; @bluestein_single_back_len1134_dim1_half_op_CI_CI
; %bb.0:
	s_load_b128 s[8:11], s[0:1], 0x28
	v_mul_u32_u24_e32 v1, 0x209, v0
	s_mov_b32 s2, exec_lo
	v_mov_b32_e32 v11, 0
	s_delay_alu instid0(VALU_DEP_2) | instskip(NEXT) | instid1(VALU_DEP_1)
	v_lshrrev_b32_e32 v1, 16, v1
	v_add_nc_u32_e32 v10, ttmp9, v1
	s_wait_kmcnt 0x0
	s_delay_alu instid0(VALU_DEP_1)
	v_cmpx_gt_u64_e64 s[8:9], v[10:11]
	s_cbranch_execz .LBB0_23
; %bb.1:
	s_clause 0x1
	s_load_b128 s[4:7], s[0:1], 0x18
	s_load_b64 s[16:17], s[0:1], 0x0
	v_mul_lo_u16 v1, 0x7e, v1
	s_movk_i32 s2, 0xfe47
	s_mov_b32 s3, -1
	s_delay_alu instid0(VALU_DEP_1) | instskip(NEXT) | instid1(VALU_DEP_1)
	v_sub_nc_u16 v7, v0, v1
	v_and_b32_e32 v59, 0xffff, v7
	s_wait_kmcnt 0x0
	s_load_b128 s[12:15], s[4:5], 0x0
	s_wait_kmcnt 0x0
	v_mad_co_u64_u32 v[0:1], null, s14, v10, 0
	v_mad_co_u64_u32 v[2:3], null, s12, v59, 0
	s_mul_u64 s[4:5], s[12:13], 0x237
	s_mul_u64 s[2:3], s[12:13], s[2:3]
	s_delay_alu instid0(SALU_CYCLE_1) | instskip(NEXT) | instid1(VALU_DEP_1)
	s_lshl_b64 s[2:3], s[2:3], 2
	v_mad_co_u64_u32 v[4:5], null, s15, v10, v[1:2]
	s_delay_alu instid0(VALU_DEP_1) | instskip(NEXT) | instid1(VALU_DEP_3)
	v_dual_mov_b32 v1, v4 :: v_dual_lshlrev_b32 v48, 2, v59
	v_mad_co_u64_u32 v[5:6], null, s13, v59, v[3:4]
	s_lshl_b64 s[12:13], s[4:5], 2
	s_clause 0x2
	global_load_b32 v61, v48, s[16:17]
	global_load_b32 v60, v48, s[16:17] offset:504
	global_load_b32 v55, v48, s[16:17] offset:1008
	v_lshlrev_b64_e32 v[0:1], 2, v[0:1]
	s_clause 0x4
	global_load_b32 v57, v48, s[16:17] offset:2772
	global_load_b32 v53, v48, s[16:17] offset:3276
	;; [unrolled: 1-line block ×5, first 2 shown]
	v_mov_b32_e32 v3, v5
	v_add_co_u32 v0, vcc_lo, s10, v0
	v_add_co_ci_u32_e32 v1, vcc_lo, s11, v1, vcc_lo
	s_delay_alu instid0(VALU_DEP_3) | instskip(NEXT) | instid1(VALU_DEP_1)
	v_lshlrev_b64_e32 v[2:3], 2, v[2:3]
	v_add_co_u32 v0, vcc_lo, v0, v2
	s_wait_alu 0xfffd
	s_delay_alu instid0(VALU_DEP_2) | instskip(SKIP_1) | instid1(VALU_DEP_2)
	v_add_co_ci_u32_e32 v1, vcc_lo, v1, v3, vcc_lo
	s_wait_alu 0xfffe
	v_add_co_u32 v2, vcc_lo, v0, s12
	s_wait_alu 0xfffd
	s_delay_alu instid0(VALU_DEP_2)
	v_add_co_ci_u32_e32 v3, vcc_lo, s13, v1, vcc_lo
	s_clause 0x1
	global_load_b32 v6, v[0:1], off
	global_load_b32 v11, v[2:3], off
	v_add_co_u32 v0, vcc_lo, v2, s2
	s_wait_alu 0xfffd
	v_add_co_ci_u32_e32 v1, vcc_lo, s3, v3, vcc_lo
	s_delay_alu instid0(VALU_DEP_2) | instskip(SKIP_1) | instid1(VALU_DEP_2)
	v_add_co_u32 v2, vcc_lo, v0, s12
	s_wait_alu 0xfffd
	v_add_co_ci_u32_e32 v3, vcc_lo, s13, v1, vcc_lo
	s_clause 0x1
	global_load_b32 v12, v[0:1], off
	global_load_b32 v13, v[2:3], off
	v_add_co_u32 v0, vcc_lo, v2, s2
	s_wait_alu 0xfffd
	v_add_co_ci_u32_e32 v1, vcc_lo, s3, v3, vcc_lo
	s_delay_alu instid0(VALU_DEP_2) | instskip(SKIP_1) | instid1(VALU_DEP_2)
	v_add_co_u32 v2, vcc_lo, v0, s12
	s_wait_alu 0xfffd
	v_add_co_ci_u32_e32 v3, vcc_lo, s13, v1, vcc_lo
	global_load_b32 v14, v[0:1], off
	v_add_co_u32 v4, vcc_lo, v2, s2
	s_wait_alu 0xfffd
	v_add_co_ci_u32_e32 v5, vcc_lo, s3, v3, vcc_lo
	global_load_b32 v2, v[2:3], off
	v_add_co_u32 v0, vcc_lo, v4, s12
	s_wait_alu 0xfffd
	v_add_co_ci_u32_e32 v1, vcc_lo, s13, v5, vcc_lo
	global_load_b32 v3, v[4:5], off
	global_load_b32 v4, v[0:1], off
	s_load_b64 s[4:5], s[0:1], 0x38
	s_load_b128 s[8:11], s[6:7], 0x0
	v_add_co_u32 v8, s6, s16, v48
	s_delay_alu instid0(VALU_DEP_1)
	v_add_co_ci_u32_e64 v9, null, s17, 0, s6
	v_cmp_gt_u16_e32 vcc_lo, 63, v7
	s_wait_loadcnt 0xf
	v_lshrrev_b32_e32 v65, 16, v61
	s_wait_loadcnt 0xe
	v_lshrrev_b32_e32 v63, 16, v60
	;; [unrolled: 2-line block ×3, first 2 shown]
	v_lshrrev_b32_e32 v56, 16, v55
	s_wait_loadcnt 0x9
	v_lshrrev_b32_e32 v64, 16, v62
	v_lshrrev_b32_e32 v54, 16, v53
	s_wait_loadcnt 0x8
	v_lshrrev_b32_e32 v52, 16, v51
	;; [unrolled: 3-line block ×3, first 2 shown]
	v_mul_f16_e32 v15, v65, v6
	s_wait_loadcnt 0x6
	v_lshrrev_b32_e32 v17, 16, v11
	v_mul_f16_e32 v18, v64, v11
	v_mul_f16_e32 v16, v65, v5
	v_fma_f16 v5, v61, v5, -v15
	s_delay_alu instid0(VALU_DEP_2)
	v_fmac_f16_e32 v16, v61, v6
	v_mul_f16_e32 v6, v64, v17
	v_fma_f16 v17, v62, v17, -v18
	s_wait_loadcnt 0x5
	v_lshrrev_b32_e32 v15, 16, v12
	v_pack_b32_f16 v5, v16, v5
	v_fmac_f16_e32 v6, v62, v11
	s_wait_loadcnt 0x4
	v_lshrrev_b32_e32 v16, 16, v13
	v_mul_f16_e32 v18, v63, v12
	v_mul_f16_e32 v11, v63, v15
	;; [unrolled: 1-line block ×3, first 2 shown]
	v_pack_b32_f16 v6, v6, v17
	s_delay_alu instid0(VALU_DEP_4) | instskip(NEXT) | instid1(VALU_DEP_4)
	v_fma_f16 v15, v60, v15, -v18
	v_fmac_f16_e32 v11, v60, v12
	v_mul_f16_e32 v12, v58, v16
	s_wait_loadcnt 0x3
	v_lshrrev_b32_e32 v17, 16, v14
	v_fma_f16 v16, v57, v16, -v19
	v_mul_f16_e32 v18, v56, v14
	ds_store_b32 v48, v6 offset:2268
	v_fmac_f16_e32 v12, v57, v13
	v_mul_f16_e32 v6, v56, v17
	v_pack_b32_f16 v11, v11, v15
	s_wait_loadcnt 0x2
	v_lshrrev_b32_e32 v13, 16, v2
	v_fma_f16 v15, v55, v17, -v18
	v_mul_f16_e32 v17, v54, v2
	v_pack_b32_f16 v12, v12, v16
	v_fmac_f16_e32 v6, v55, v14
	s_wait_loadcnt 0x1
	v_lshrrev_b32_e32 v16, 16, v3
	s_wait_loadcnt 0x0
	v_lshrrev_b32_e32 v18, 16, v4
	v_mul_f16_e32 v14, v54, v13
	v_fma_f16 v13, v53, v13, -v17
	v_mul_f16_e32 v17, v52, v3
	v_pack_b32_f16 v15, v6, v15
	v_mul_f16_e32 v6, v52, v16
	v_mul_f16_e32 v19, v50, v18
	;; [unrolled: 1-line block ×3, first 2 shown]
	v_fmac_f16_e32 v14, v53, v2
	v_fma_f16 v2, v51, v16, -v17
	v_fmac_f16_e32 v6, v51, v3
	v_fmac_f16_e32 v19, v49, v4
	v_fma_f16 v3, v49, v18, -v20
	v_pack_b32_f16 v4, v14, v13
	v_add_nc_u32_e32 v13, 0xa00, v48
	v_pack_b32_f16 v2, v6, v2
	v_add_nc_u32_e32 v6, 0x200, v48
	v_pack_b32_f16 v3, v19, v3
	ds_store_2addr_b32 v48, v5, v11 offset1:126
	ds_store_2addr_b32 v13, v12, v4 offset0:53 offset1:179
	ds_store_2addr_b32 v6, v15, v2 offset0:124 offset1:250
	ds_store_b32 v48, v3 offset:3780
	s_and_saveexec_b32 s6, vcc_lo
	s_cbranch_execz .LBB0_3
; %bb.2:
	v_add_co_u32 v0, s2, v0, s2
	s_wait_alu 0xf1ff
	v_add_co_ci_u32_e64 v1, s2, s3, v1, s2
	s_delay_alu instid0(VALU_DEP_2) | instskip(SKIP_1) | instid1(VALU_DEP_2)
	v_add_co_u32 v2, s2, v0, s12
	s_wait_alu 0xf1ff
	v_add_co_ci_u32_e64 v3, s2, s13, v1, s2
	s_clause 0x1
	global_load_b32 v4, v[8:9], off offset:2016
	global_load_b32 v5, v[8:9], off offset:4284
	global_load_b32 v0, v[0:1], off
	global_load_b32 v1, v[2:3], off
	s_wait_loadcnt 0x3
	v_lshrrev_b32_e32 v2, 16, v4
	s_wait_loadcnt 0x2
	v_lshrrev_b32_e32 v3, 16, v5
	;; [unrolled: 2-line block ×4, first 2 shown]
	v_mul_f16_e32 v12, v2, v0
	s_delay_alu instid0(VALU_DEP_3) | instskip(NEXT) | instid1(VALU_DEP_3)
	v_mul_f16_e32 v2, v2, v7
	v_mul_f16_e32 v13, v3, v11
	;; [unrolled: 1-line block ×3, first 2 shown]
	s_delay_alu instid0(VALU_DEP_4) | instskip(NEXT) | instid1(VALU_DEP_4)
	v_fma_f16 v7, v4, v7, -v12
	v_fmac_f16_e32 v2, v4, v0
	s_delay_alu instid0(VALU_DEP_4) | instskip(NEXT) | instid1(VALU_DEP_4)
	v_fmac_f16_e32 v13, v5, v1
	v_fma_f16 v0, v5, v11, -v3
	s_delay_alu instid0(VALU_DEP_3) | instskip(NEXT) | instid1(VALU_DEP_2)
	v_pack_b32_f16 v1, v2, v7
	v_pack_b32_f16 v0, v13, v0
	ds_store_b32 v48, v1 offset:2016
	ds_store_b32 v48, v0 offset:4284
.LBB0_3:
	s_wait_alu 0xfffe
	s_or_b32 exec_lo, exec_lo, s6
	v_add_nc_u32_e32 v0, 0x800, v48
	v_add_nc_u32_e32 v7, 0xc00, v48
	global_wb scope:SCOPE_SE
	s_wait_dscnt 0x0
	s_wait_kmcnt 0x0
	s_barrier_signal -1
	s_barrier_wait -1
	global_inv scope:SCOPE_SE
	ds_load_2addr_b32 v[2:3], v48 offset1:126
	ds_load_2addr_b32 v[4:5], v0 offset0:55 offset1:181
	ds_load_2addr_b32 v[0:1], v6 offset0:124 offset1:250
	;; [unrolled: 1-line block ×3, first 2 shown]
	s_load_b64 s[2:3], s[0:1], 0x8
                                        ; implicit-def: $vgpr11
                                        ; implicit-def: $vgpr12
	s_and_saveexec_b32 s0, vcc_lo
	s_cbranch_execz .LBB0_5
; %bb.4:
	ds_load_b32 v11, v48 offset:2016
	ds_load_b32 v12, v48 offset:4284
.LBB0_5:
	s_wait_alu 0xfffe
	s_or_b32 exec_lo, exec_lo, s0
	v_add_co_u32 v25, s0, 0x7e, v59
	v_lshlrev_b16 v14, 1, v59
	s_wait_alu 0xf1ff
	v_add_co_ci_u32_e64 v13, null, 0, 0, s0
	v_add_co_u32 v26, s0, 0xfc, v59
	s_wait_alu 0xf1ff
	v_add_co_ci_u32_e64 v13, null, 0, 0, s0
	v_add_co_u32 v16, null, 0x1f8, v59
	s_wait_dscnt 0x2
	v_pk_add_f16 v13, v2, v4 neg_lo:[0,1] neg_hi:[0,1]
	v_pk_add_f16 v4, v3, v5 neg_lo:[0,1] neg_hi:[0,1]
	v_and_b32_e32 v5, 0xffff, v14
	s_wait_dscnt 0x0
	v_pk_add_f16 v6, v0, v6 neg_lo:[0,1] neg_hi:[0,1]
	v_pk_add_f16 v15, v1, v7 neg_lo:[0,1] neg_hi:[0,1]
	v_lshlrev_b32_e32 v70, 3, v59
	v_pk_add_f16 v35, v11, v12 neg_lo:[0,1] neg_hi:[0,1]
	v_lshlrev_b32_e32 v66, 2, v5
	v_pk_fma_f16 v12, v2, 2.0, v13 op_sel_hi:[1,0,1] neg_lo:[0,0,1] neg_hi:[0,0,1]
	v_lshlrev_b32_e32 v68, 3, v25
	v_lshlrev_b32_e32 v69, 3, v26
	;; [unrolled: 1-line block ×3, first 2 shown]
	v_pk_fma_f16 v3, v3, 2.0, v4 op_sel_hi:[1,0,1] neg_lo:[0,0,1] neg_hi:[0,0,1]
	v_pk_fma_f16 v5, v0, 2.0, v6 op_sel_hi:[1,0,1] neg_lo:[0,0,1] neg_hi:[0,0,1]
	;; [unrolled: 1-line block ×3, first 2 shown]
	global_wb scope:SCOPE_SE
	s_wait_kmcnt 0x0
	s_barrier_signal -1
	s_barrier_wait -1
	global_inv scope:SCOPE_SE
	ds_store_b64 v66, v[12:13]
	ds_store_b64 v68, v[3:4]
	;; [unrolled: 1-line block ×3, first 2 shown]
	ds_store_b64 v70, v[14:15] offset:3024
	s_and_saveexec_b32 s0, vcc_lo
	s_cbranch_execz .LBB0_7
; %bb.6:
	v_pk_fma_f16 v34, v11, 2.0, v35 op_sel_hi:[1,0,1] neg_lo:[0,0,1] neg_hi:[0,0,1]
	ds_store_b64 v67, v[34:35]
.LBB0_7:
	s_wait_alu 0xfffe
	s_or_b32 exec_lo, exec_lo, s0
	v_and_b32_e32 v17, 1, v59
	global_wb scope:SCOPE_SE
	s_wait_dscnt 0x0
	s_barrier_signal -1
	s_barrier_wait -1
	global_inv scope:SCOPE_SE
	v_lshlrev_b32_e32 v0, 3, v17
	v_lshrrev_b32_e32 v19, 1, v59
	v_lshrrev_b32_e32 v20, 1, v25
	;; [unrolled: 1-line block ×3, first 2 shown]
	v_and_b32_e32 v2, 0xff, v59
	global_load_b64 v[11:12], v0, s[2:3]
	v_and_b32_e32 v3, 0xff, v25
	v_and_b32_e32 v22, 0xffff, v26
	v_mul_u32_u24_e32 v19, 6, v19
	v_mul_u32_u24_e32 v20, 6, v20
	;; [unrolled: 1-line block ×3, first 2 shown]
	v_mul_lo_u16 v23, 0xab, v2
	v_mul_lo_u16 v24, 0xab, v3
	v_mul_u32_u24_e32 v27, 0xaaab, v22
	v_add_nc_u32_e32 v1, 0x200, v48
	v_add_nc_u32_e32 v96, 0xa00, v48
	;; [unrolled: 1-line block ×3, first 2 shown]
	v_or_b32_e32 v19, v19, v17
	v_or_b32_e32 v20, v20, v17
	v_or_b32_e32 v17, v21, v17
	v_lshrrev_b16 v21, 10, v23
	v_lshrrev_b16 v23, 10, v24
	v_lshrrev_b32_e32 v24, 18, v27
	ds_load_2addr_b32 v[4:5], v48 offset1:126
	ds_load_b32 v18, v48 offset:4032
	ds_load_2addr_b32 v[6:7], v1 offset0:124 offset1:250
	ds_load_2addr_b32 v[13:14], v96 offset0:116 offset1:242
	;; [unrolled: 1-line block ×3, first 2 shown]
	v_lshlrev_b32_e32 v72, 2, v20
	v_lshlrev_b32_e32 v71, 2, v17
	v_mul_lo_u16 v17, v21, 6
	v_mul_lo_u16 v20, v24, 6
	v_lshlrev_b32_e32 v73, 2, v19
	v_mul_lo_u16 v19, v23, 6
	global_wb scope:SCOPE_SE
	s_wait_loadcnt_dscnt 0x0
	v_sub_nc_u16 v17, v59, v17
	v_sub_nc_u16 v30, v26, v20
	s_barrier_signal -1
	v_sub_nc_u16 v19, v25, v19
	s_barrier_wait -1
	v_and_b32_e32 v36, 0xff, v17
	v_lshlrev_b16 v17, 3, v30
	global_inv scope:SCOPE_SE
	v_and_b32_e32 v37, 0xff, v19
	v_mad_u16 v24, v24, 18, v30
	v_lshrrev_b32_e32 v31, 16, v7
	v_lshrrev_b32_e32 v32, 16, v13
	v_and_b32_e32 v17, 0xffff, v17
	v_lshrrev_b32_e32 v33, 16, v15
	v_lshrrev_b32_e32 v34, 16, v14
	v_lshrrev_b32_e32 v29, 16, v18
	v_lshrrev_b32_e32 v39, 16, v16
	v_add_co_u32 v19, s0, s2, v17
	v_lshrrev_b32_e32 v38, 16, v6
	v_lshrrev_b32_e32 v27, 16, v4
	;; [unrolled: 1-line block ×3, first 2 shown]
	v_lshlrev_b32_e32 v40, 3, v36
	v_lshlrev_b32_e32 v41, 3, v37
	s_wait_alu 0xf1ff
	v_add_co_ci_u32_e64 v20, null, s3, 0, s0
	v_add_nc_u32_e32 v120, 0x400, v48
                                        ; implicit-def: $vgpr118
                                        ; implicit-def: $vgpr121
                                        ; implicit-def: $vgpr117
                                        ; implicit-def: $vgpr119
                                        ; implicit-def: $vgpr122
	v_lshrrev_b32_e32 v78, 16, v11
	v_lshrrev_b32_e32 v77, 16, v12
	s_delay_alu instid0(VALU_DEP_2) | instskip(SKIP_1) | instid1(VALU_DEP_3)
	v_mul_f16_e32 v17, v31, v78
	v_mul_f16_e32 v42, v7, v78
	;; [unrolled: 1-line block ×12, first 2 shown]
	v_fma_f16 v7, v7, v11, -v17
	v_fmac_f16_e32 v42, v31, v11
	v_fma_f16 v13, v13, v12, -v43
	v_fmac_f16_e32 v44, v32, v12
	;; [unrolled: 2-line block ×6, first 2 shown]
	v_add_f16_e32 v29, v7, v13
	v_add_f16_e32 v33, v42, v44
	;; [unrolled: 1-line block ×5, first 2 shown]
	v_sub_f16_e32 v75, v76, v80
	v_add_f16_e32 v79, v38, v76
	v_add_f16_e32 v76, v76, v80
	;; [unrolled: 1-line block ×3, first 2 shown]
	v_sub_f16_e32 v31, v42, v44
	v_add_f16_e32 v32, v27, v42
	v_sub_f16_e32 v7, v7, v13
	v_sub_f16_e32 v42, v46, v74
	v_add_f16_e32 v43, v28, v46
	v_add_f16_e32 v46, v6, v16
	v_fma_f16 v4, -0.5, v29, v4
	v_fmac_f16_e32 v27, -0.5, v33
	v_add_f16_e32 v34, v5, v15
	v_sub_f16_e32 v15, v15, v14
	v_fmac_f16_e32 v5, -0.5, v39
	v_fmac_f16_e32 v28, -0.5, v45
	v_sub_f16_e32 v16, v16, v17
	v_fmac_f16_e32 v6, -0.5, v47
	v_fmac_f16_e32 v38, -0.5, v76
	v_add_f16_e32 v13, v18, v13
	v_add_f16_e32 v18, v32, v44
	;; [unrolled: 1-line block ×4, first 2 shown]
	v_fmamk_f16 v33, v31, 0x3aee, v4
	v_fmac_f16_e32 v4, 0xbaee, v31
	v_fmamk_f16 v31, v7, 0xbaee, v27
	v_fmac_f16_e32 v27, 0x3aee, v7
	v_add_f16_e32 v14, v34, v14
	v_add_f16_e32 v29, v43, v74
	v_fmamk_f16 v7, v42, 0x3aee, v5
	v_fmamk_f16 v34, v15, 0xbaee, v28
	v_fmac_f16_e32 v5, 0xbaee, v42
	v_fmac_f16_e32 v28, 0x3aee, v15
	v_fmamk_f16 v15, v75, 0x3aee, v6
	v_fmamk_f16 v39, v16, 0xbaee, v38
	v_fmac_f16_e32 v6, 0xbaee, v75
	v_fmac_f16_e32 v38, 0x3aee, v16
	v_pack_b32_f16 v13, v13, v18
	v_pack_b32_f16 v16, v17, v32
	;; [unrolled: 1-line block ×9, first 2 shown]
	ds_store_2addr_b32 v73, v13, v17 offset1:2
	ds_store_b32 v73, v4 offset:16
	ds_store_2addr_b32 v72, v14, v7 offset1:2
	ds_store_b32 v72, v5 offset:16
	;; [unrolled: 2-line block ×3, first 2 shown]
	global_wb scope:SCOPE_SE
	s_wait_dscnt 0x0
	s_barrier_signal -1
	s_barrier_wait -1
	global_inv scope:SCOPE_SE
	s_clause 0x2
	global_load_b64 v[17:18], v40, s[2:3] offset:16
	global_load_b64 v[15:16], v41, s[2:3] offset:16
	global_load_b64 v[13:14], v[19:20], off offset:16
	v_mul_lo_u16 v4, v2, 57
	v_mul_lo_u16 v5, v3, 57
	v_mul_u32_u24_e32 v6, 0xe38f, v22
	v_and_b32_e32 v19, 0xffff, v23
	v_mul_lo_u16 v2, v2, 19
	v_lshrrev_b16 v29, 10, v4
	v_lshrrev_b16 v31, 10, v5
	v_lshrrev_b32_e32 v32, 20, v6
	v_and_b32_e32 v4, 0xffff, v21
	v_mul_u32_u24_e32 v23, 18, v19
	v_mul_lo_u16 v5, v29, 18
	v_mul_lo_u16 v6, v31, 18
	;; [unrolled: 1-line block ×3, first 2 shown]
	v_mul_u32_u24_e32 v21, 18, v4
	v_add_lshl_u32 v75, v23, v37, 2
	v_sub_nc_u16 v4, v59, v5
	v_sub_nc_u16 v5, v25, v6
	;; [unrolled: 1-line block ×3, first 2 shown]
	v_add_lshl_u32 v74, v21, v36, 2
	v_and_b32_e32 v23, 0xffff, v24
	v_and_b32_e32 v30, 0xff, v4
	;; [unrolled: 1-line block ×3, first 2 shown]
	ds_load_2addr_b32 v[4:5], v48 offset1:126
	ds_load_2addr_b32 v[6:7], v1 offset0:124 offset1:250
	ds_load_2addr_b32 v[19:20], v96 offset0:116 offset1:242
	;; [unrolled: 1-line block ×3, first 2 shown]
	ds_load_b32 v36, v48 offset:4032
	v_lshlrev_b16 v27, 3, v33
	v_lshlrev_b32_e32 v76, 2, v23
	v_lshlrev_b32_e32 v37, 3, v30
	;; [unrolled: 1-line block ×3, first 2 shown]
	global_wb scope:SCOPE_SE
	s_wait_loadcnt_dscnt 0x0
	v_and_b32_e32 v24, 0xffff, v27
	s_barrier_signal -1
	s_barrier_wait -1
	global_inv scope:SCOPE_SE
	v_mul_lo_u16 v3, v3, 19
	v_add_co_u32 v27, s0, s2, v24
	s_wait_alu 0xf1ff
	v_add_co_ci_u32_e64 v28, null, s3, 0, s0
	v_lshrrev_b32_e32 v23, 16, v4
	v_lshrrev_b32_e32 v24, 16, v7
	;; [unrolled: 1-line block ×15, first 2 shown]
	v_mul_f16_e32 v46, v24, v93
	v_mul_f16_e32 v47, v7, v93
	;; [unrolled: 1-line block ×12, first 2 shown]
	v_fma_f16 v7, v7, v17, -v46
	v_fmac_f16_e32 v47, v24, v17
	v_fma_f16 v19, v19, v18, -v79
	v_fmac_f16_e32 v80, v39, v18
	;; [unrolled: 2-line block ×6, first 2 shown]
	v_add_f16_e32 v39, v7, v19
	v_add_f16_e32 v44, v47, v80
	;; [unrolled: 1-line block ×5, first 2 shown]
	v_sub_f16_e32 v90, v91, v94
	v_add_f16_e32 v92, v43, v91
	v_add_f16_e32 v91, v91, v94
	;; [unrolled: 1-line block ×3, first 2 shown]
	v_sub_f16_e32 v41, v47, v80
	v_add_f16_e32 v42, v23, v47
	v_sub_f16_e32 v7, v7, v19
	v_sub_f16_e32 v47, v86, v89
	v_add_f16_e32 v79, v40, v86
	v_add_f16_e32 v86, v6, v22
	v_fma_f16 v4, -0.5, v39, v4
	v_fmac_f16_e32 v23, -0.5, v44
	v_add_f16_e32 v45, v5, v21
	v_sub_f16_e32 v21, v21, v20
	v_fmac_f16_e32 v5, -0.5, v46
	v_fmac_f16_e32 v40, -0.5, v81
	v_sub_f16_e32 v22, v22, v24
	v_fmac_f16_e32 v6, -0.5, v87
	v_fmac_f16_e32 v43, -0.5, v91
	v_add_f16_e32 v19, v36, v19
	v_add_f16_e32 v36, v42, v80
	;; [unrolled: 1-line block ×4, first 2 shown]
	v_fmamk_f16 v44, v41, 0x3aee, v4
	v_fmac_f16_e32 v4, 0xbaee, v41
	v_fmamk_f16 v41, v7, 0xbaee, v23
	v_fmac_f16_e32 v23, 0x3aee, v7
	v_add_f16_e32 v20, v45, v20
	v_add_f16_e32 v39, v79, v89
	v_fmamk_f16 v7, v47, 0x3aee, v5
	v_fmamk_f16 v45, v21, 0xbaee, v40
	v_fmac_f16_e32 v5, 0xbaee, v47
	v_fmac_f16_e32 v40, 0x3aee, v21
	v_fmamk_f16 v21, v90, 0x3aee, v6
	v_fmamk_f16 v46, v22, 0xbaee, v43
	v_fmac_f16_e32 v6, 0xbaee, v90
	v_fmac_f16_e32 v43, 0x3aee, v22
	v_pack_b32_f16 v19, v19, v36
	v_pack_b32_f16 v22, v24, v42
	;; [unrolled: 1-line block ×9, first 2 shown]
	ds_store_2addr_b32 v74, v19, v24 offset1:6
	ds_store_b32 v74, v4 offset:48
	ds_store_2addr_b32 v75, v20, v7 offset1:6
	ds_store_b32 v75, v5 offset:48
	;; [unrolled: 2-line block ×3, first 2 shown]
	global_wb scope:SCOPE_SE
	s_wait_dscnt 0x0
	s_barrier_signal -1
	s_barrier_wait -1
	global_inv scope:SCOPE_SE
	s_clause 0x2
	global_load_b64 v[23:24], v37, s[2:3] offset:64
	global_load_b64 v[21:22], v38, s[2:3] offset:64
	global_load_b64 v[19:20], v[27:28], off offset:64
	v_lshrrev_b16 v4, 1, v26
	v_lshrrev_b16 v36, 10, v2
	;; [unrolled: 1-line block ×3, first 2 shown]
	v_and_b32_e32 v2, 0xffff, v29
	v_and_b32_e32 v6, 0xffff, v31
	;; [unrolled: 1-line block ×3, first 2 shown]
	v_mul_lo_u16 v3, v36, 54
	v_mad_u16 v29, v32, 54, v33
	v_mul_u32_u24_e32 v27, 54, v2
	v_mul_u32_u24_e32 v28, 54, v6
	;; [unrolled: 1-line block ×3, first 2 shown]
	v_sub_nc_u16 v2, v59, v3
	s_delay_alu instid0(VALU_DEP_4) | instskip(NEXT) | instid1(VALU_DEP_4)
	v_add_lshl_u32 v79, v27, v30, 2
	v_add_lshl_u32 v80, v28, v34, 2
	s_delay_alu instid0(VALU_DEP_4) | instskip(SKIP_3) | instid1(VALU_DEP_4)
	v_lshrrev_b32_e32 v40, 20, v4
	v_mul_lo_u16 v4, v39, 54
	v_and_b32_e32 v42, 0xff, v2
	v_and_b32_e32 v28, 0xffff, v29
	v_mul_lo_u16 v5, v40, 54
	s_delay_alu instid0(VALU_DEP_4) | instskip(NEXT) | instid1(VALU_DEP_3)
	v_sub_nc_u16 v3, v25, v4
	v_lshlrev_b32_e32 v81, 2, v28
	s_delay_alu instid0(VALU_DEP_3) | instskip(NEXT) | instid1(VALU_DEP_3)
	v_sub_nc_u16 v41, v26, v5
	v_and_b32_e32 v43, 0xff, v3
	ds_load_2addr_b32 v[2:3], v48 offset1:126
	ds_load_2addr_b32 v[4:5], v1 offset0:124 offset1:250
	ds_load_2addr_b32 v[6:7], v96 offset0:116 offset1:242
	ds_load_2addr_b32 v[26:27], v0 offset0:120 offset1:246
	ds_load_b32 v30, v48 offset:4032
	v_lshlrev_b16 v31, 3, v41
	v_lshlrev_b32_e32 v37, 3, v43
	global_wb scope:SCOPE_SE
	s_wait_loadcnt_dscnt 0x0
	s_barrier_signal -1
	s_barrier_wait -1
	v_and_b32_e32 v29, 0xffff, v31
	v_lshlrev_b32_e32 v31, 3, v42
	global_inv scope:SCOPE_SE
	v_add_co_u32 v33, s0, s2, v29
	s_wait_alu 0xf1ff
	v_add_co_ci_u32_e64 v34, null, s3, 0, s0
	v_cmp_gt_u16_e64 s0, 36, v59
	v_lshrrev_b32_e32 v28, 16, v2
	v_lshrrev_b32_e32 v29, 16, v5
	;; [unrolled: 1-line block ×15, first 2 shown]
	v_mul_f16_e32 v87, v29, v102
	v_mul_f16_e32 v89, v5, v102
	;; [unrolled: 1-line block ×12, first 2 shown]
	v_fma_f16 v5, v5, v23, -v87
	v_fmac_f16_e32 v89, v29, v23
	v_fma_f16 v6, v6, v24, -v90
	v_fmac_f16_e32 v91, v32, v24
	;; [unrolled: 2-line block ×6, first 2 shown]
	v_add_f16_e32 v32, v5, v6
	v_add_f16_e32 v47, v89, v91
	;; [unrolled: 1-line block ×5, first 2 shown]
	v_sub_f16_e32 v104, v105, v107
	v_add_f16_e32 v106, v46, v105
	v_add_f16_e32 v105, v105, v107
	;; [unrolled: 1-line block ×3, first 2 shown]
	v_sub_f16_e32 v44, v89, v91
	v_add_f16_e32 v45, v28, v89
	v_sub_f16_e32 v5, v5, v6
	v_sub_f16_e32 v89, v94, v103
	v_add_f16_e32 v90, v38, v94
	v_add_f16_e32 v94, v4, v27
	v_fma_f16 v2, -0.5, v32, v2
	v_fmac_f16_e32 v28, -0.5, v47
	v_add_f16_e32 v86, v3, v26
	v_sub_f16_e32 v26, v26, v7
	v_fmac_f16_e32 v3, -0.5, v87
	v_fmac_f16_e32 v38, -0.5, v92
	v_sub_f16_e32 v27, v27, v29
	v_fmac_f16_e32 v4, -0.5, v95
	v_fmac_f16_e32 v46, -0.5, v105
	v_add_f16_e32 v6, v30, v6
	v_add_f16_e32 v30, v45, v91
	v_add_f16_e32 v29, v94, v29
	v_add_f16_e32 v45, v106, v107
	v_fmamk_f16 v47, v44, 0x3aee, v2
	v_fmac_f16_e32 v2, 0xbaee, v44
	v_fmamk_f16 v44, v5, 0xbaee, v28
	v_fmac_f16_e32 v28, 0x3aee, v5
	v_add_f16_e32 v7, v86, v7
	v_add_f16_e32 v32, v90, v103
	v_fmamk_f16 v5, v89, 0x3aee, v3
	v_fmamk_f16 v86, v26, 0xbaee, v38
	v_fmac_f16_e32 v3, 0xbaee, v89
	v_fmac_f16_e32 v38, 0x3aee, v26
	v_fmamk_f16 v26, v104, 0x3aee, v4
	v_fmamk_f16 v87, v27, 0xbaee, v46
	v_fmac_f16_e32 v4, 0xbaee, v104
	v_fmac_f16_e32 v46, 0x3aee, v27
	v_pack_b32_f16 v6, v6, v30
	v_pack_b32_f16 v27, v29, v45
	;; [unrolled: 1-line block ×9, first 2 shown]
	ds_store_2addr_b32 v79, v6, v29 offset1:18
	ds_store_b32 v79, v2 offset:144
	ds_store_2addr_b32 v80, v7, v5 offset1:18
	ds_store_b32 v80, v3 offset:144
	;; [unrolled: 2-line block ×3, first 2 shown]
	global_wb scope:SCOPE_SE
	s_wait_dscnt 0x0
	s_barrier_signal -1
	s_barrier_wait -1
	global_inv scope:SCOPE_SE
	s_clause 0x2
	global_load_b64 v[31:32], v31, s[2:3] offset:208
	global_load_b64 v[29:30], v37, s[2:3] offset:208
	global_load_b64 v[27:28], v[33:34], off offset:208
	ds_load_2addr_b32 v[2:3], v48 offset1:126
	ds_load_2addr_b32 v[37:38], v1 offset0:124 offset1:250
	ds_load_2addr_b32 v[4:5], v96 offset0:116 offset1:242
	ds_load_2addr_b32 v[6:7], v0 offset0:120 offset1:246
	ds_load_b32 v34, v48 offset:4032
	v_and_b32_e32 v26, 0xffff, v36
	v_mad_u16 v33, 0xa2, v40, v41
	v_and_b32_e32 v1, 0xffff, v39
	global_wb scope:SCOPE_SE
	s_wait_loadcnt_dscnt 0x0
	s_barrier_signal -1
	v_mul_u32_u24_e32 v26, 0xa2, v26
	v_and_b32_e32 v33, 0xffff, v33
	v_mul_u32_u24_e32 v1, 0xa2, v1
	s_barrier_wait -1
	global_inv scope:SCOPE_SE
	v_add_lshl_u32 v92, v26, v42, 2
	v_lshlrev_b32_e32 v90, 2, v33
	v_add_lshl_u32 v91, v1, v43, 2
	v_lshrrev_b32_e32 v1, 16, v2
	v_lshrrev_b32_e32 v26, 16, v38
	;; [unrolled: 1-line block ×15, first 2 shown]
	v_mul_f16_e32 v43, v26, v112
	v_mul_f16_e32 v44, v38, v112
	;; [unrolled: 1-line block ×12, first 2 shown]
	v_fma_f16 v38, v38, v31, -v43
	v_fmac_f16_e32 v44, v26, v31
	v_fma_f16 v4, v4, v32, -v45
	v_fmac_f16_e32 v46, v33, v32
	;; [unrolled: 2-line block ×6, first 2 shown]
	v_add_f16_e32 v34, v38, v4
	v_add_f16_e32 v41, v44, v46
	;; [unrolled: 1-line block ×5, first 2 shown]
	v_sub_f16_e32 v94, v95, v106
	v_add_f16_e32 v105, v116, v95
	v_add_f16_e32 v95, v95, v106
	;; [unrolled: 1-line block ×3, first 2 shown]
	v_sub_f16_e32 v36, v44, v46
	v_add_f16_e32 v40, v1, v44
	v_sub_f16_e32 v38, v38, v4
	v_add_f16_e32 v42, v3, v6
	v_fma_f16 v2, -0.5, v34, v2
	v_fmac_f16_e32 v1, -0.5, v41
	v_sub_f16_e32 v44, v86, v89
	v_add_f16_e32 v45, v39, v86
	v_sub_f16_e32 v6, v6, v5
	v_fmac_f16_e32 v3, -0.5, v43
	v_fmac_f16_e32 v39, -0.5, v47
	v_add_f16_e32 v86, v37, v7
	v_sub_f16_e32 v7, v7, v26
	v_fmac_f16_e32 v37, -0.5, v87
	v_fmac_f16_e32 v116, -0.5, v95
	v_add_f16_e32 v4, v33, v4
	v_add_f16_e32 v33, v40, v46
	;; [unrolled: 1-line block ×3, first 2 shown]
	v_fmamk_f16 v41, v36, 0x3aee, v2
	v_fmamk_f16 v42, v38, 0xbaee, v1
	v_fmac_f16_e32 v2, 0xbaee, v36
	v_fmac_f16_e32 v1, 0x3aee, v38
	v_add_f16_e32 v34, v45, v89
	v_fmamk_f16 v38, v44, 0x3aee, v3
	v_fmamk_f16 v43, v6, 0xbaee, v39
	v_fmac_f16_e32 v3, 0xbaee, v44
	v_fmac_f16_e32 v39, 0x3aee, v6
	v_add_f16_e32 v26, v86, v26
	v_add_f16_e32 v40, v105, v106
	v_fmamk_f16 v36, v94, 0x3aee, v37
	v_fmamk_f16 v115, v7, 0xbaee, v116
	v_fmac_f16_e32 v37, 0xbaee, v94
	v_fmac_f16_e32 v116, 0x3aee, v7
	v_pack_b32_f16 v4, v4, v33
	v_pack_b32_f16 v7, v41, v42
	;; [unrolled: 1-line block ×9, first 2 shown]
	ds_store_2addr_b32 v92, v4, v7 offset1:54
	ds_store_b32 v92, v1 offset:432
	ds_store_2addr_b32 v91, v5, v2 offset1:54
	ds_store_b32 v91, v3 offset:432
	;; [unrolled: 2-line block ×3, first 2 shown]
	global_wb scope:SCOPE_SE
	s_wait_dscnt 0x0
	s_barrier_signal -1
	s_barrier_wait -1
	global_inv scope:SCOPE_SE
	ds_load_2addr_b32 v[38:39], v48 offset1:162
	ds_load_2addr_b32 v[46:47], v120 offset0:68 offset1:230
	ds_load_2addr_b32 v[44:45], v96 offset0:8 offset1:170
	ds_load_b32 v86, v48 offset:3888
                                        ; implicit-def: $vgpr41
                                        ; implicit-def: $vgpr43
	s_and_saveexec_b32 s1, s0
	s_cbranch_execz .LBB0_9
; %bb.8:
	v_add_nc_u32_e32 v1, 0x100, v48
	v_add_nc_u32_e32 v2, 0xc00, v48
	ds_load_2addr_b32 v[40:41], v0 offset0:66 offset1:228
	ds_load_b32 v117, v48 offset:4392
	ds_load_2addr_b32 v[36:37], v1 offset0:62 offset1:224
	ds_load_2addr_b32 v[42:43], v2 offset0:6 offset1:168
	s_wait_dscnt 0x3
	v_mov_b32_e32 v35, v40
	v_lshrrev_b32_e32 v118, 16, v41
	s_wait_dscnt 0x2
	v_lshrrev_b32_e32 v119, 16, v117
	s_wait_dscnt 0x1
	v_lshrrev_b32_e32 v115, 16, v36
	v_lshrrev_b32_e32 v116, 16, v37
	s_wait_dscnt 0x0
	v_lshrrev_b32_e32 v122, 16, v42
	v_lshrrev_b32_e32 v121, 16, v43
.LBB0_9:
	s_wait_alu 0xfffe
	s_or_b32 exec_lo, exec_lo, s1
	v_mad_co_u64_u32 v[0:1], null, v59, 24, s[2:3]
	s_wait_dscnt 0x3
	v_lshrrev_b32_e32 v87, 16, v39
	s_wait_dscnt 0x2
	v_lshrrev_b32_e32 v89, 16, v46
	v_lshrrev_b32_e32 v94, 16, v47
	s_wait_dscnt 0x1
	v_lshrrev_b32_e32 v95, 16, v44
	;; [unrolled: 3-line block ×3, first 2 shown]
	s_clause 0x1
	global_load_b128 v[4:7], v[0:1], off offset:640
	global_load_b64 v[33:34], v[0:1], off offset:656
	v_subrev_nc_u32_e32 v0, 36, v59
	v_lshrrev_b32_e32 v125, 16, v35
	v_lshrrev_b32_e32 v40, 16, v38
	s_delay_alu instid0(VALU_DEP_3) | instskip(NEXT) | instid1(VALU_DEP_1)
	v_cndmask_b32_e64 v0, v0, v25, s0
	v_mul_i32_i24_e32 v1, 24, v0
	v_mul_hi_i32_i24_e32 v0, 24, v0
	s_delay_alu instid0(VALU_DEP_2) | instskip(SKIP_1) | instid1(VALU_DEP_2)
	v_add_co_u32 v25, s1, s2, v1
	s_wait_alu 0xf1ff
	v_add_co_ci_u32_e64 v26, s1, s3, v0, s1
	s_clause 0x1
	global_load_b128 v[0:3], v[25:26], off offset:640
	global_load_b64 v[25:26], v[25:26], off offset:656
	s_wait_loadcnt 0x3
	v_lshrrev_b32_e32 v114, 16, v4
	v_lshrrev_b32_e32 v113, 16, v5
	;; [unrolled: 1-line block ×4, first 2 shown]
	s_wait_loadcnt 0x2
	v_lshrrev_b32_e32 v105, 16, v33
	v_lshrrev_b32_e32 v107, 16, v34
	v_mul_f16_e32 v126, v87, v114
	v_mul_f16_e32 v127, v39, v114
	v_mul_f16_e64 v128, v89, v113
	v_mul_f16_e64 v129, v46, v113
	;; [unrolled: 1-line block ×10, first 2 shown]
	v_fma_f16 v39, v39, v4, -v126
	v_fmac_f16_e32 v127, v87, v4
	v_fma_f16 v46, v46, v5, -v128
	v_fmac_f16_e64 v129, v89, v5
	v_fma_f16 v126, v47, v6, -v130
	v_fmac_f16_e64 v131, v94, v6
	v_fma_f16 v44, v44, v7, -v132
	v_fmac_f16_e64 v133, v95, v7
	v_fma_f16 v45, v45, v33, -v134
	v_fmac_f16_e64 v135, v123, v33
	v_fma_f16 v123, v86, v34, -v136
	v_fmac_f16_e64 v137, v124, v34
	s_wait_loadcnt 0x1
	v_lshrrev_b32_e32 v94, 16, v0
	v_lshrrev_b32_e32 v87, 16, v1
	s_wait_loadcnt 0x0
	v_lshrrev_b32_e32 v89, 16, v25
	v_lshrrev_b32_e32 v95, 16, v26
	;; [unrolled: 1-line block ×4, first 2 shown]
	v_add_f16_e32 v124, v39, v123
	v_add_f16_e64 v128, v127, v137
	v_sub_f16_e32 v39, v39, v123
	v_sub_f16_e64 v123, v127, v137
	v_add_f16_e32 v127, v46, v45
	v_add_f16_e64 v130, v129, v135
	v_sub_f16_e32 v45, v46, v45
	v_sub_f16_e64 v46, v129, v135
	v_add_f16_e64 v129, v126, v44
	v_add_f16_e64 v132, v131, v133
	v_sub_f16_e32 v44, v44, v126
	v_sub_f16_e64 v126, v133, v131
	v_mul_f16_e64 v131, v116, v94
	v_mul_f16_e64 v133, v37, v94
	;; [unrolled: 1-line block ×12, first 2 shown]
	v_add_f16_e64 v144, v127, v124
	v_add_f16_e64 v145, v130, v128
	v_sub_f16_e64 v147, v130, v128
	v_sub_f16_e64 v128, v128, v132
	v_add_f16_e64 v149, v126, v46
	v_sub_f16_e64 v150, v44, v45
	v_sub_f16_e64 v151, v126, v46
	v_sub_f16_e32 v46, v46, v123
	v_fma_f16 v37, v37, v0, -v131
	v_fmac_f16_e64 v133, v116, v0
	v_fma_f16 v35, v35, v1, -v134
	v_fmac_f16_e64 v135, v125, v1
	;; [unrolled: 2-line block ×4, first 2 shown]
	v_sub_f16_e64 v146, v127, v124
	v_sub_f16_e64 v124, v124, v129
	;; [unrolled: 1-line block ×4, first 2 shown]
	v_add_f16_e64 v148, v44, v45
	v_sub_f16_e32 v44, v39, v44
	v_sub_f16_e32 v126, v123, v126
	;; [unrolled: 1-line block ×3, first 2 shown]
	v_fma_f16 v41, v41, v2, -v136
	v_fmac_f16_e64 v137, v118, v2
	v_fma_f16 v42, v42, v3, -v138
	v_fmac_f16_e64 v139, v122, v3
	v_add_f16_e64 v117, v129, v144
	v_add_f16_e64 v118, v132, v145
	v_mul_f16_e64 v122, 0x3a52, v128
	v_mul_f16_e64 v125, 0xb846, v150
	v_mul_f16_e64 v128, 0xb846, v151
	v_mul_f16_e64 v131, 0x3b00, v46
	v_add_f16_e64 v132, v37, v116
	v_add_f16_e64 v134, v133, v143
	v_sub_f16_e32 v37, v37, v116
	v_sub_f16_e64 v116, v133, v143
	v_add_f16_e64 v133, v35, v43
	v_add_f16_e64 v136, v135, v141
	;; [unrolled: 1-line block ×3, first 2 shown]
	v_mul_f16_e32 v121, 0x3a52, v124
	v_mul_f16_e32 v123, 0x2b26, v127
	v_mul_f16_e64 v124, 0x2b26, v130
	v_mul_f16_e64 v129, 0x3b00, v45
	v_sub_f16_e32 v35, v35, v43
	v_sub_f16_e64 v43, v135, v141
	v_add_f16_e64 v135, v41, v42
	v_add_f16_e64 v138, v137, v139
	v_sub_f16_e32 v41, v42, v41
	v_sub_f16_e64 v42, v139, v137
	v_add_f16_e32 v38, v38, v117
	v_add_f16_e32 v40, v40, v118
	v_fma_f16 v137, 0x3574, v44, v125
	v_fma_f16 v139, 0x3574, v126, v128
	v_fma_f16 v45, v45, 0x3b00, -v125
	v_fma_f16 v46, v46, 0x3b00, -v128
	;; [unrolled: 1-line block ×3, first 2 shown]
	v_add_f16_e64 v126, v133, v132
	v_add_f16_e64 v128, v136, v134
	;; [unrolled: 1-line block ×3, first 2 shown]
	v_fmamk_f16 v127, v127, 0x2b26, v121
	v_fma_f16 v130, 0x2b26, v130, v122
	v_fma_f16 v123, v146, 0x39e0, -v123
	v_fma_f16 v124, v147, 0x39e0, -v124
	;; [unrolled: 1-line block ×5, first 2 shown]
	v_sub_f16_e64 v129, v133, v132
	v_sub_f16_e64 v131, v136, v134
	;; [unrolled: 1-line block ×6, first 2 shown]
	v_add_f16_e64 v140, v41, v35
	v_add_f16_e64 v141, v42, v43
	v_sub_f16_e64 v142, v41, v35
	v_sub_f16_e64 v143, v42, v43
	v_sub_f16_e32 v35, v35, v37
	v_sub_f16_e32 v43, v43, v116
	v_fmamk_f16 v117, v117, 0xbcab, v38
	v_fmamk_f16 v118, v118, 0xbcab, v40
	v_fmac_f16_e64 v139, 0x370e, v119
	v_fmac_f16_e32 v46, 0x370e, v119
	v_fmac_f16_e32 v125, 0x370e, v119
	v_pack_b32_f16 v144, v38, v40
	v_add_f16_e64 v38, v135, v126
	v_add_f16_e64 v119, v138, v128
	v_sub_f16_e32 v41, v37, v41
	v_sub_f16_e32 v42, v116, v42
	v_fmac_f16_e64 v137, 0x370e, v39
	v_fmac_f16_e32 v45, 0x370e, v39
	v_fmac_f16_e32 v44, 0x370e, v39
	v_add_f16_e64 v37, v140, v37
	v_add_f16_e64 v116, v141, v116
	v_mul_f16_e64 v126, 0x3a52, v132
	v_mul_f16_e64 v128, 0x3a52, v134
	;; [unrolled: 1-line block ×8, first 2 shown]
	v_add_f16_e32 v127, v127, v117
	v_add_f16_e64 v130, v130, v118
	v_add_f16_e32 v123, v123, v117
	v_add_f16_e32 v124, v124, v118
	;; [unrolled: 1-line block ×6, first 2 shown]
	v_fma_f16 v36, 0x2b26, v133, v126
	v_fma_f16 v115, 0x2b26, v136, v128
	v_fma_f16 v121, v129, 0x39e0, -v132
	v_fma_f16 v122, v131, 0x39e0, -v134
	;; [unrolled: 1-line block ×4, first 2 shown]
	v_fma_f16 v129, 0x3574, v41, v135
	v_fma_f16 v131, 0x3574, v42, v138
	v_fma_f16 v132, v35, 0x3b00, -v135
	v_fma_f16 v43, v43, 0x3b00, -v138
	;; [unrolled: 1-line block ×4, first 2 shown]
	v_add_f16_e64 v134, v125, v117
	v_sub_f16_e64 v135, v118, v44
	v_sub_f16_e64 v136, v123, v46
	v_add_f16_e64 v138, v45, v124
	v_add_f16_e32 v46, v46, v123
	v_sub_f16_e32 v45, v124, v45
	v_sub_f16_e32 v117, v117, v125
	v_add_f16_e32 v44, v44, v118
	v_sub_f16_e64 v118, v127, v139
	v_add_f16_e64 v123, v137, v130
	v_fmamk_f16 v38, v38, 0xbcab, v39
	v_fmamk_f16 v119, v119, 0xbcab, v40
	v_add_f16_e64 v35, v139, v127
	v_sub_f16_e64 v133, v130, v137
	v_fmac_f16_e64 v129, 0x370e, v37
	v_fmac_f16_e64 v131, 0x370e, v116
	v_fmac_f16_e64 v132, 0x370e, v37
	v_fmac_f16_e32 v43, 0x370e, v116
	v_fmac_f16_e32 v41, 0x370e, v37
	;; [unrolled: 1-line block ×3, first 2 shown]
	v_pack_b32_f16 v45, v46, v45
	v_pack_b32_f16 v44, v117, v44
	;; [unrolled: 1-line block ×3, first 2 shown]
	v_add_f16_e32 v118, v36, v38
	v_add_f16_e64 v130, v115, v119
	v_add_f16_e32 v37, v121, v38
	v_add_f16_e32 v38, v126, v38
	v_add_f16_e64 v117, v128, v119
	v_add_f16_e32 v116, v122, v119
	v_pack_b32_f16 v124, v35, v133
	v_add_f16_e64 v121, v131, v118
	v_sub_f16_e64 v122, v130, v129
	v_add_f16_e32 v35, v42, v38
	v_sub_f16_e32 v123, v117, v41
	v_sub_f16_e32 v36, v37, v43
	v_add_f16_e64 v115, v132, v116
	v_add_f16_e32 v37, v43, v37
	v_sub_f16_e64 v116, v116, v132
	v_sub_f16_e32 v38, v38, v42
	v_add_f16_e32 v117, v41, v117
	v_sub_f16_e64 v118, v118, v131
	v_add_f16_e64 v119, v129, v130
	v_pack_b32_f16 v125, v134, v135
	v_pack_b32_f16 v127, v136, v138
	ds_store_2addr_b32 v48, v144, v124 offset1:162
	ds_store_2addr_b32 v120, v125, v127 offset0:68 offset1:230
	ds_store_2addr_b32 v96, v45, v44 offset0:8 offset1:170
	ds_store_b32 v48, v46 offset:3888
	s_and_saveexec_b32 s1, s0
	s_cbranch_execz .LBB0_11
; %bb.10:
	v_perm_b32 v39, v40, v39, 0x5040100
	v_perm_b32 v40, v122, v121, 0x5040100
	v_add_nc_u32_e32 v41, 0x100, v48
	v_perm_b32 v42, v123, v35, 0x5040100
	v_perm_b32 v43, v115, v36, 0x5040100
	v_add_nc_u32_e32 v44, 0x600, v48
	;; [unrolled: 3-line block ×3, first 2 shown]
	v_perm_b32 v120, v119, v118, 0x5040100
	ds_store_2addr_b32 v41, v39, v40 offset0:62 offset1:224
	ds_store_2addr_b32 v44, v42, v43 offset0:66 offset1:228
	ds_store_2addr_b32 v96, v45, v46 offset0:6 offset1:168
	ds_store_b32 v48, v120 offset:4392
.LBB0_11:
	s_wait_alu 0xfffe
	s_or_b32 exec_lo, exec_lo, s1
	global_wb scope:SCOPE_SE
	s_wait_dscnt 0x0
	s_barrier_signal -1
	s_barrier_wait -1
	global_inv scope:SCOPE_SE
	global_load_b32 v39, v[8:9], off offset:4536
	s_add_nc_u64 s[2:3], s[16:17], 0x11b8
	s_clause 0x6
	global_load_b32 v44, v48, s[2:3] offset:504
	global_load_b32 v46, v48, s[2:3] offset:2268
	;; [unrolled: 1-line block ×7, first 2 shown]
	ds_load_2addr_b32 v[40:41], v48 offset1:126
	v_add_nc_u32_e32 v133, 0xa00, v48
	v_add_nc_u32_e32 v135, 0x500, v48
	s_wait_dscnt 0x0
	v_lshrrev_b32_e32 v42, 16, v40
	v_lshrrev_b32_e32 v131, 16, v41
	s_wait_loadcnt 0x6
	v_lshrrev_b32_e32 v132, 16, v44
	s_wait_loadcnt 0x5
	v_lshrrev_b32_e32 v136, 16, v46
	s_wait_loadcnt 0x4
	v_lshrrev_b32_e32 v137, 16, v96
	v_lshrrev_b32_e32 v43, 16, v39
	v_mul_f16_e64 v134, v131, v132
	v_mul_f16_e64 v132, v41, v132
	s_wait_loadcnt 0x1
	v_lshrrev_b32_e32 v138, 16, v129
	v_mul_f16_e32 v45, v42, v43
	v_mul_f16_e32 v43, v40, v43
	v_fma_f16 v41, v41, v44, -v134
	v_fmac_f16_e64 v132, v131, v44
	v_lshrrev_b32_e32 v44, 16, v120
	v_fma_f16 v40, v40, v39, -v45
	v_fmac_f16_e32 v43, v42, v39
	v_add_nc_u32_e32 v39, 0x200, v48
	v_add_nc_u32_e32 v45, 0xc00, v48
	v_lshrrev_b32_e32 v131, 16, v128
	v_pack_b32_f16 v41, v41, v132
	v_pack_b32_f16 v42, v40, v43
	v_add_nc_u32_e32 v40, 0x800, v48
	s_wait_loadcnt 0x0
	v_lshrrev_b32_e32 v134, 16, v130
	ds_store_b32 v48, v42
	ds_load_2addr_b32 v[42:43], v40 offset0:55 offset1:181
	ds_load_2addr_b32 v[124:125], v39 offset0:124 offset1:250
	;; [unrolled: 1-line block ×3, first 2 shown]
	s_wait_dscnt 0x1
	v_lshrrev_b32_e32 v142, 16, v124
	v_lshrrev_b32_e32 v132, 16, v42
	v_mul_f16_e64 v139, v42, v136
	v_lshrrev_b32_e32 v140, 16, v43
	s_wait_dscnt 0x0
	v_lshrrev_b32_e32 v144, 16, v126
	v_lshrrev_b32_e32 v146, 16, v125
	;; [unrolled: 1-line block ×3, first 2 shown]
	v_mul_f16_e64 v143, v124, v44
	v_mul_f16_e64 v44, v142, v44
	v_mul_f16_e64 v141, v43, v137
	v_mul_f16_e64 v145, v126, v131
	v_mul_f16_e64 v136, v132, v136
	v_fmac_f16_e64 v139, v132, v46
	v_mul_f16_e64 v132, v140, v137
	v_mul_f16_e64 v131, v144, v131
	;; [unrolled: 1-line block ×6, first 2 shown]
	v_fmac_f16_e64 v143, v142, v120
	v_fma_f16 v44, v124, v120, -v44
	v_fmac_f16_e64 v141, v140, v96
	v_fmac_f16_e64 v145, v144, v128
	v_fma_f16 v42, v42, v46, -v136
	v_fma_f16 v43, v43, v96, -v132
	;; [unrolled: 1-line block ×3, first 2 shown]
	v_fmac_f16_e64 v147, v146, v130
	v_fma_f16 v96, v125, v130, -v134
	v_fmac_f16_e64 v149, v148, v129
	v_fma_f16 v120, v127, v129, -v137
	v_pack_b32_f16 v44, v44, v143
	v_pack_b32_f16 v43, v43, v141
	;; [unrolled: 1-line block ×6, first 2 shown]
	ds_store_2addr_b32 v48, v41, v44 offset0:126 offset1:252
	ds_store_2addr_b32 v133, v43, v46 offset0:53 offset1:179
	;; [unrolled: 1-line block ×3, first 2 shown]
	ds_store_b32 v48, v120 offset:3780
	s_and_saveexec_b32 s1, vcc_lo
	s_cbranch_execz .LBB0_13
; %bb.12:
	s_wait_alu 0xfffe
	v_add_co_u32 v41, s2, s2, v48
	s_wait_alu 0xf1ff
	v_add_co_ci_u32_e64 v42, null, s3, 0, s2
	s_clause 0x1
	global_load_b32 v43, v[41:42], off offset:2016
	global_load_b32 v41, v[41:42], off offset:4284
	ds_load_b32 v42, v48 offset:2016
	ds_load_b32 v44, v48 offset:4284
	s_wait_dscnt 0x1
	v_lshrrev_b32_e32 v46, 16, v42
	s_wait_dscnt 0x0
	v_lshrrev_b32_e32 v120, 16, v44
	s_wait_loadcnt 0x1
	v_lshrrev_b32_e32 v96, 16, v43
	s_wait_loadcnt 0x0
	v_lshrrev_b32_e32 v124, 16, v41
	s_delay_alu instid0(VALU_DEP_2) | instskip(SKIP_1) | instid1(VALU_DEP_3)
	v_mul_f16_e32 v125, v46, v96
	v_mul_f16_e32 v96, v42, v96
	;; [unrolled: 1-line block ×4, first 2 shown]
	s_delay_alu instid0(VALU_DEP_4) | instskip(NEXT) | instid1(VALU_DEP_4)
	v_fma_f16 v42, v42, v43, -v125
	v_fmac_f16_e32 v96, v46, v43
	s_delay_alu instid0(VALU_DEP_4) | instskip(NEXT) | instid1(VALU_DEP_4)
	v_fma_f16 v43, v44, v41, -v126
	v_fmac_f16_e32 v124, v120, v41
	s_delay_alu instid0(VALU_DEP_3) | instskip(NEXT) | instid1(VALU_DEP_2)
	v_pack_b32_f16 v41, v42, v96
	v_pack_b32_f16 v42, v43, v124
	ds_store_b32 v48, v41 offset:2016
	ds_store_b32 v48, v42 offset:4284
.LBB0_13:
	s_wait_alu 0xfffe
	s_or_b32 exec_lo, exec_lo, s1
	global_wb scope:SCOPE_SE
	s_wait_dscnt 0x0
	s_barrier_signal -1
	s_barrier_wait -1
	global_inv scope:SCOPE_SE
	ds_load_2addr_b32 v[41:42], v48 offset1:126
	ds_load_2addr_b32 v[43:44], v40 offset0:55 offset1:181
	ds_load_2addr_b32 v[39:40], v39 offset0:124 offset1:250
	;; [unrolled: 1-line block ×3, first 2 shown]
	v_add_nc_u32_e32 v70, 0xbd0, v70
	s_and_saveexec_b32 s1, vcc_lo
	s_cbranch_execz .LBB0_15
; %bb.14:
	ds_load_b32 v121, v48 offset:2016
	ds_load_b32 v35, v48 offset:4284
	s_wait_dscnt 0x1
	v_lshrrev_b32_e32 v122, 16, v121
	s_wait_dscnt 0x0
	v_lshrrev_b32_e32 v123, 16, v35
.LBB0_15:
	s_wait_alu 0xfffe
	s_or_b32 exec_lo, exec_lo, s1
	s_wait_dscnt 0x2
	v_pk_add_f16 v124, v41, v43 neg_lo:[0,1] neg_hi:[0,1]
	v_pk_add_f16 v126, v42, v44 neg_lo:[0,1] neg_hi:[0,1]
	s_wait_dscnt 0x0
	v_pk_add_f16 v45, v39, v45 neg_lo:[0,1] neg_hi:[0,1]
	v_pk_add_f16 v128, v40, v46 neg_lo:[0,1] neg_hi:[0,1]
	v_sub_f16_e32 v35, v121, v35
	v_sub_f16_e32 v43, v122, v123
	v_pk_fma_f16 v123, v41, 2.0, v124 op_sel_hi:[1,0,1] neg_lo:[0,0,1] neg_hi:[0,0,1]
	v_pk_fma_f16 v125, v42, 2.0, v126 op_sel_hi:[1,0,1] neg_lo:[0,0,1] neg_hi:[0,0,1]
	;; [unrolled: 1-line block ×4, first 2 shown]
	global_wb scope:SCOPE_SE
	s_barrier_signal -1
	s_barrier_wait -1
	global_inv scope:SCOPE_SE
	ds_store_b64 v66, v[123:124]
	ds_store_b64 v68, v[125:126]
	;; [unrolled: 1-line block ×4, first 2 shown]
	s_and_saveexec_b32 s1, vcc_lo
	s_cbranch_execz .LBB0_17
; %bb.16:
	v_fma_f16 v39, v121, 2.0, -v35
	v_fma_f16 v40, v122, 2.0, -v43
	s_delay_alu instid0(VALU_DEP_1)
	v_pack_b32_f16 v39, v39, v40
	v_perm_b32 v40, v43, v35, 0x5040100
	ds_store_b64 v67, v[39:40]
.LBB0_17:
	s_wait_alu 0xfffe
	s_or_b32 exec_lo, exec_lo, s1
	v_add_nc_u32_e32 v41, 0x200, v48
	v_add_nc_u32_e32 v39, 0xa00, v48
	;; [unrolled: 1-line block ×3, first 2 shown]
	global_wb scope:SCOPE_SE
	s_wait_dscnt 0x0
	s_barrier_signal -1
	s_barrier_wait -1
	global_inv scope:SCOPE_SE
	ds_load_2addr_b32 v[44:45], v48 offset1:126
	ds_load_b32 v42, v48 offset:4032
	ds_load_2addr_b32 v[66:67], v41 offset0:124 offset1:250
	ds_load_2addr_b32 v[68:69], v39 offset0:116 offset1:242
	;; [unrolled: 1-line block ×3, first 2 shown]
	global_wb scope:SCOPE_SE
	s_wait_dscnt 0x0
	s_barrier_signal -1
	s_barrier_wait -1
	global_inv scope:SCOPE_SE
	v_lshrrev_b32_e32 v96, 16, v42
	v_lshrrev_b32_e32 v122, 16, v67
	;; [unrolled: 1-line block ×5, first 2 shown]
	v_mul_f16_e64 v128, v78, v67
	v_mul_f16_e64 v129, v77, v68
	;; [unrolled: 1-line block ×3, first 2 shown]
	v_lshrrev_b32_e32 v127, 16, v121
	v_mul_f16_e64 v132, v78, v122
	v_fma_f16 v122, v11, v122, -v128
	v_mul_f16_e64 v128, v77, v123
	v_fma_f16 v123, v12, v123, -v129
	;; [unrolled: 2-line block ×3, first 2 shown]
	v_mul_f16_e64 v130, v77, v125
	v_mul_f16_e64 v131, v77, v69
	;; [unrolled: 1-line block ×3, first 2 shown]
	v_fmac_f16_e64 v132, v11, v67
	v_fmac_f16_e64 v128, v12, v68
	;; [unrolled: 1-line block ×3, first 2 shown]
	v_mul_f16_e32 v67, v78, v121
	v_mul_f16_e32 v69, v77, v96
	;; [unrolled: 1-line block ×3, first 2 shown]
	v_lshrrev_b32_e32 v46, 16, v44
	v_fmac_f16_e64 v129, v11, v120
	v_fma_f16 v68, v12, v125, -v131
	v_fmac_f16_e64 v133, v11, v121
	v_fma_f16 v11, v11, v127, -v67
	v_add_f16_e64 v67, v132, v128
	v_fmac_f16_e32 v69, v12, v42
	v_fma_f16 v12, v12, v96, -v77
	v_add_f16_e32 v77, v122, v123
	v_add_f16_e64 v42, v44, v132
	v_fma_f16 v44, -0.5, v67, v44
	v_sub_f16_e32 v67, v122, v123
	v_add_f16_e32 v78, v46, v122
	v_fmac_f16_e32 v46, -0.5, v77
	v_sub_f16_e64 v77, v132, v128
	v_lshrrev_b32_e32 v70, 16, v45
	v_fmamk_f16 v96, v67, 0xbaee, v44
	v_fmac_f16_e32 v44, 0x3aee, v67
	v_add_f16_e32 v67, v78, v123
	v_add_f16_e64 v78, v129, v130
	v_fmamk_f16 v120, v77, 0x3aee, v46
	v_fmac_f16_e32 v46, 0xbaee, v77
	v_add_f16_e32 v77, v124, v68
	v_add_f16_e64 v121, v45, v129
	v_fmac_f16_e32 v45, -0.5, v78
	v_sub_f16_e32 v78, v124, v68
	v_add_f16_e32 v122, v70, v124
	v_fmac_f16_e32 v70, -0.5, v77
	v_sub_f16_e64 v77, v129, v130
	v_lshrrev_b32_e32 v126, 16, v66
	v_fmamk_f16 v123, v78, 0xbaee, v45
	v_fmac_f16_e32 v45, 0x3aee, v78
	v_add_f16_e32 v68, v122, v68
	v_add_f16_e64 v78, v133, v69
	v_fmamk_f16 v122, v77, 0x3aee, v70
	v_fmac_f16_e32 v70, 0xbaee, v77
	v_add_f16_e32 v77, v11, v12
	v_add_f16_e64 v42, v42, v128
	v_add_f16_e64 v124, v66, v133
	v_fmac_f16_e32 v66, -0.5, v78
	v_sub_f16_e32 v78, v11, v12
	v_add_f16_e32 v11, v126, v11
	v_fmac_f16_e32 v126, -0.5, v77
	v_sub_f16_e64 v77, v133, v69
	v_pack_b32_f16 v42, v42, v67
	v_pack_b32_f16 v67, v96, v120
	v_add_f16_e64 v121, v121, v130
	v_add_f16_e32 v69, v124, v69
	v_fmamk_f16 v124, v78, 0xbaee, v66
	v_add_f16_e32 v11, v11, v12
	v_fmamk_f16 v12, v77, 0x3aee, v126
	v_fmac_f16_e32 v66, 0x3aee, v78
	v_fmac_f16_e32 v126, 0xbaee, v77
	ds_store_2addr_b32 v73, v42, v67 offset1:2
	v_pack_b32_f16 v42, v44, v46
	v_pack_b32_f16 v44, v121, v68
	;; [unrolled: 1-line block ×7, first 2 shown]
	ds_store_b32 v73, v42 offset:16
	ds_store_2addr_b32 v72, v44, v46 offset1:2
	ds_store_b32 v72, v45 offset:16
	ds_store_2addr_b32 v71, v11, v12 offset1:2
	ds_store_b32 v71, v66 offset:16
	global_wb scope:SCOPE_SE
	s_wait_dscnt 0x0
	s_barrier_signal -1
	s_barrier_wait -1
	global_inv scope:SCOPE_SE
	ds_load_2addr_b32 v[11:12], v48 offset1:126
	ds_load_2addr_b32 v[44:45], v41 offset0:124 offset1:250
	ds_load_2addr_b32 v[66:67], v39 offset0:116 offset1:242
	;; [unrolled: 1-line block ×3, first 2 shown]
	ds_load_b32 v42, v48 offset:4032
	global_wb scope:SCOPE_SE
	s_wait_dscnt 0x0
	s_barrier_signal -1
	s_barrier_wait -1
	global_inv scope:SCOPE_SE
	v_lshrrev_b32_e32 v46, 16, v11
	v_lshrrev_b32_e32 v70, 16, v45
	;; [unrolled: 1-line block ×6, first 2 shown]
	v_mul_f16_e32 v96, v93, v70
	v_mul_f16_e32 v93, v93, v45
	;; [unrolled: 1-line block ×3, first 2 shown]
	v_lshrrev_b32_e32 v121, 16, v42
	v_lshrrev_b32_e32 v72, 16, v12
	v_fmac_f16_e32 v96, v17, v45
	v_mul_f16_e32 v45, v88, v66
	v_fma_f16 v17, v17, v70, -v93
	v_mul_f16_e32 v70, v85, v73
	v_fmac_f16_e32 v122, v18, v66
	v_mul_f16_e32 v66, v85, v68
	v_fma_f16 v18, v18, v71, -v45
	v_mul_f16_e32 v45, v84, v77
	;; [unrolled: 4-line block ×4, first 2 shown]
	v_fmac_f16_e32 v66, v13, v69
	v_mul_f16_e32 v69, v82, v42
	v_fma_f16 v13, v13, v120, -v67
	v_add_f16_e32 v67, v96, v122
	v_fmac_f16_e32 v68, v14, v42
	v_add_f16_e32 v42, v11, v96
	v_fma_f16 v14, v14, v121, -v69
	v_add_f16_e32 v69, v17, v18
	v_fma_f16 v11, -0.5, v67, v11
	v_sub_f16_e32 v67, v17, v18
	v_add_f16_e32 v17, v46, v17
	v_add_f16_e32 v73, v12, v70
	v_fmac_f16_e32 v46, -0.5, v69
	v_sub_f16_e32 v69, v96, v122
	v_fmamk_f16 v71, v67, 0xbaee, v11
	v_add_f16_e32 v17, v17, v18
	v_add_f16_e32 v18, v70, v45
	v_fmac_f16_e32 v11, 0x3aee, v67
	v_fmamk_f16 v67, v69, 0x3aee, v46
	v_fmac_f16_e32 v46, 0xbaee, v69
	v_add_f16_e32 v69, v15, v16
	v_fmac_f16_e32 v12, -0.5, v18
	v_sub_f16_e32 v18, v15, v16
	v_add_f16_e32 v15, v72, v15
	v_add_f16_e32 v73, v73, v45
	v_fmac_f16_e32 v72, -0.5, v69
	v_sub_f16_e32 v45, v70, v45
	v_lshrrev_b32_e32 v78, 16, v44
	v_add_f16_e32 v15, v15, v16
	v_add_f16_e32 v16, v66, v68
	v_fmamk_f16 v69, v18, 0xbaee, v12
	v_fmac_f16_e32 v12, 0x3aee, v18
	v_fmamk_f16 v18, v45, 0x3aee, v72
	v_fmac_f16_e32 v72, 0xbaee, v45
	v_add_f16_e32 v45, v13, v14
	v_add_f16_e32 v42, v42, v122
	;; [unrolled: 1-line block ×3, first 2 shown]
	v_fmac_f16_e32 v44, -0.5, v16
	v_sub_f16_e32 v16, v13, v14
	v_add_f16_e32 v13, v78, v13
	v_fmac_f16_e32 v78, -0.5, v45
	v_sub_f16_e32 v45, v66, v68
	v_add_f16_e32 v66, v70, v68
	v_fmamk_f16 v68, v16, 0xbaee, v44
	v_fmac_f16_e32 v44, 0x3aee, v16
	v_pack_b32_f16 v16, v42, v17
	v_pack_b32_f16 v17, v71, v67
	v_add_f16_e32 v13, v13, v14
	v_fmamk_f16 v14, v45, 0x3aee, v78
	v_fmac_f16_e32 v78, 0xbaee, v45
	v_pack_b32_f16 v11, v11, v46
	ds_store_2addr_b32 v74, v16, v17 offset1:6
	v_pack_b32_f16 v15, v73, v15
	v_pack_b32_f16 v16, v69, v18
	;; [unrolled: 1-line block ×6, first 2 shown]
	ds_store_b32 v74, v11 offset:48
	ds_store_2addr_b32 v75, v15, v16 offset1:6
	ds_store_b32 v75, v12 offset:48
	ds_store_2addr_b32 v76, v13, v14 offset1:6
	ds_store_b32 v76, v17 offset:48
	global_wb scope:SCOPE_SE
	s_wait_dscnt 0x0
	s_barrier_signal -1
	s_barrier_wait -1
	global_inv scope:SCOPE_SE
	ds_load_2addr_b32 v[11:12], v48 offset1:126
	ds_load_2addr_b32 v[13:14], v41 offset0:124 offset1:250
	ds_load_2addr_b32 v[15:16], v39 offset0:116 offset1:242
	ds_load_2addr_b32 v[17:18], v40 offset0:120 offset1:246
	ds_load_b32 v42, v48 offset:4032
	global_wb scope:SCOPE_SE
	s_wait_dscnt 0x0
	s_barrier_signal -1
	s_barrier_wait -1
	global_inv scope:SCOPE_SE
	v_lshrrev_b32_e32 v44, 16, v11
	v_lshrrev_b32_e32 v45, 16, v14
	;; [unrolled: 1-line block ×4, first 2 shown]
	v_mul_f16_e32 v72, v102, v14
	v_lshrrev_b32_e32 v68, 16, v16
	v_mul_f16_e32 v70, v102, v45
	v_mul_f16_e32 v74, v101, v46
	v_lshrrev_b32_e32 v71, 16, v18
	v_lshrrev_b32_e32 v73, 16, v42
	;; [unrolled: 1-line block ×3, first 2 shown]
	v_fmac_f16_e32 v70, v23, v14
	v_mul_f16_e32 v14, v101, v15
	v_fma_f16 v23, v23, v45, -v72
	v_mul_f16_e32 v45, v100, v67
	v_fmac_f16_e32 v74, v24, v15
	v_mul_f16_e32 v15, v100, v17
	v_fma_f16 v14, v24, v46, -v14
	v_mul_f16_e32 v24, v99, v68
	;; [unrolled: 4-line block ×4, first 2 shown]
	v_fmac_f16_e32 v21, v19, v18
	v_mul_f16_e32 v18, v97, v42
	v_fma_f16 v16, v19, v71, -v16
	v_add_f16_e32 v19, v70, v74
	v_fmac_f16_e32 v22, v20, v42
	v_add_f16_e32 v42, v11, v70
	v_fma_f16 v18, v20, v73, -v18
	v_add_f16_e32 v20, v23, v14
	v_fma_f16 v11, -0.5, v19, v11
	v_sub_f16_e32 v19, v23, v14
	v_add_f16_e32 v23, v44, v23
	v_add_f16_e32 v67, v12, v45
	v_fmac_f16_e32 v44, -0.5, v20
	v_sub_f16_e32 v20, v70, v74
	v_fmamk_f16 v46, v19, 0xbaee, v11
	v_fmac_f16_e32 v11, 0x3aee, v19
	v_add_f16_e32 v19, v45, v24
	v_add_f16_e32 v14, v23, v14
	v_fmamk_f16 v23, v20, 0x3aee, v44
	v_fmac_f16_e32 v44, 0xbaee, v20
	v_add_f16_e32 v20, v15, v17
	v_fmac_f16_e32 v12, -0.5, v19
	v_sub_f16_e32 v19, v15, v17
	v_add_f16_e32 v15, v66, v15
	v_lshrrev_b32_e32 v69, 16, v13
	v_fmac_f16_e32 v66, -0.5, v20
	v_sub_f16_e32 v20, v45, v24
	v_add_f16_e32 v67, v67, v24
	v_add_f16_e32 v15, v15, v17
	;; [unrolled: 1-line block ×3, first 2 shown]
	v_fmamk_f16 v24, v19, 0xbaee, v12
	v_fmac_f16_e32 v12, 0x3aee, v19
	v_fmamk_f16 v19, v20, 0x3aee, v66
	v_fmac_f16_e32 v66, 0xbaee, v20
	v_add_f16_e32 v20, v16, v18
	v_add_f16_e32 v42, v42, v74
	;; [unrolled: 1-line block ×3, first 2 shown]
	v_fmac_f16_e32 v13, -0.5, v17
	v_sub_f16_e32 v17, v16, v18
	v_add_f16_e32 v16, v69, v16
	v_fmac_f16_e32 v69, -0.5, v20
	v_sub_f16_e32 v20, v21, v22
	v_pack_b32_f16 v14, v42, v14
	v_add_f16_e32 v21, v45, v22
	v_add_f16_e32 v16, v16, v18
	v_pack_b32_f16 v18, v46, v23
	v_fmamk_f16 v22, v17, 0xbaee, v13
	v_fmac_f16_e32 v13, 0x3aee, v17
	v_fmamk_f16 v17, v20, 0x3aee, v69
	v_fmac_f16_e32 v69, 0xbaee, v20
	v_pack_b32_f16 v11, v11, v44
	ds_store_2addr_b32 v79, v14, v18 offset1:18
	v_pack_b32_f16 v14, v67, v15
	v_pack_b32_f16 v15, v24, v19
	;; [unrolled: 1-line block ×6, first 2 shown]
	ds_store_b32 v79, v11 offset:144
	ds_store_2addr_b32 v80, v14, v15 offset1:18
	ds_store_b32 v80, v12 offset:144
	ds_store_2addr_b32 v81, v16, v17 offset1:18
	ds_store_b32 v81, v13 offset:144
	global_wb scope:SCOPE_SE
	s_wait_dscnt 0x0
	s_barrier_signal -1
	s_barrier_wait -1
	global_inv scope:SCOPE_SE
	ds_load_2addr_b32 v[13:14], v48 offset1:126
	ds_load_2addr_b32 v[11:12], v41 offset0:124 offset1:250
	ds_load_2addr_b32 v[15:16], v39 offset0:116 offset1:242
	;; [unrolled: 1-line block ×3, first 2 shown]
	ds_load_b32 v19, v48 offset:4032
	global_wb scope:SCOPE_SE
	s_wait_dscnt 0x0
	s_barrier_signal -1
	s_barrier_wait -1
	global_inv scope:SCOPE_SE
	v_lshrrev_b32_e32 v22, 16, v13
	v_lshrrev_b32_e32 v21, 16, v12
	;; [unrolled: 1-line block ×4, first 2 shown]
	v_mul_f16_e32 v46, v112, v12
	v_lshrrev_b32_e32 v42, 16, v16
	v_mul_f16_e32 v44, v112, v21
	v_mul_f16_e32 v67, v110, v23
	v_lshrrev_b32_e32 v45, 16, v18
	v_fma_f16 v21, v31, v21, -v46
	v_lshrrev_b32_e32 v66, 16, v19
	v_fmac_f16_e32 v44, v31, v12
	v_mul_f16_e32 v12, v110, v15
	v_mul_f16_e32 v31, v109, v41
	v_fmac_f16_e32 v67, v32, v15
	v_mul_f16_e32 v15, v109, v17
	v_lshrrev_b32_e32 v24, 16, v14
	v_fma_f16 v12, v32, v23, -v12
	v_mul_f16_e32 v23, v108, v42
	v_fmac_f16_e32 v31, v29, v17
	v_mul_f16_e32 v17, v108, v16
	v_fma_f16 v15, v29, v41, -v15
	v_mul_f16_e32 v29, v104, v45
	v_fmac_f16_e32 v23, v30, v16
	v_mul_f16_e32 v16, v104, v18
	;; [unrolled: 4-line block ×3, first 2 shown]
	v_fma_f16 v16, v27, v45, -v16
	v_add_f16_e32 v27, v44, v67
	v_fmac_f16_e32 v30, v28, v19
	v_add_f16_e32 v19, v13, v44
	v_fma_f16 v18, v28, v66, -v18
	v_add_f16_e32 v28, v21, v12
	v_fma_f16 v13, -0.5, v27, v13
	v_sub_f16_e32 v27, v21, v12
	v_add_f16_e32 v21, v22, v21
	v_lshrrev_b32_e32 v20, 16, v11
	v_fmac_f16_e32 v22, -0.5, v28
	v_sub_f16_e32 v28, v44, v67
	v_fmamk_f16 v32, v27, 0xbaee, v13
	v_fmac_f16_e32 v13, 0x3aee, v27
	v_add_f16_e32 v27, v21, v12
	v_add_f16_e32 v12, v31, v23
	v_fmamk_f16 v41, v28, 0x3aee, v22
	v_add_f16_e32 v21, v14, v31
	v_fmac_f16_e32 v22, 0xbaee, v28
	v_add_f16_e32 v28, v15, v17
	v_fmac_f16_e32 v14, -0.5, v12
	v_sub_f16_e32 v12, v15, v17
	v_add_f16_e32 v42, v21, v23
	v_add_f16_e32 v15, v24, v15
	v_fmac_f16_e32 v24, -0.5, v28
	v_sub_f16_e32 v21, v31, v23
	v_fmamk_f16 v23, v12, 0xbaee, v14
	v_fmac_f16_e32 v14, 0x3aee, v12
	v_add_f16_e32 v15, v15, v17
	v_add_f16_e32 v12, v29, v30
	v_fmamk_f16 v17, v21, 0x3aee, v24
	v_fmac_f16_e32 v24, 0xbaee, v21
	v_add_f16_e32 v21, v16, v18
	v_add_f16_e32 v19, v19, v67
	;; [unrolled: 1-line block ×3, first 2 shown]
	v_fmac_f16_e32 v11, -0.5, v12
	v_sub_f16_e32 v31, v16, v18
	v_add_f16_e32 v16, v20, v16
	v_fmac_f16_e32 v20, -0.5, v21
	v_sub_f16_e32 v29, v29, v30
	v_add_f16_e32 v28, v28, v30
	v_fmamk_f16 v12, v31, 0xbaee, v11
	v_add_f16_e32 v16, v16, v18
	v_pack_b32_f16 v18, v19, v27
	v_fmamk_f16 v21, v29, 0x3aee, v20
	v_pack_b32_f16 v19, v32, v41
	v_fmac_f16_e32 v11, 0x3aee, v31
	v_fmac_f16_e32 v20, 0xbaee, v29
	v_pack_b32_f16 v13, v13, v22
	v_pack_b32_f16 v15, v42, v15
	v_pack_b32_f16 v17, v23, v17
	v_add_nc_u32_e32 v22, 0x400, v48
	v_pack_b32_f16 v14, v14, v24
	ds_store_2addr_b32 v92, v18, v19 offset1:54
	v_pack_b32_f16 v16, v28, v16
	v_pack_b32_f16 v18, v12, v21
	;; [unrolled: 1-line block ×3, first 2 shown]
	ds_store_b32 v92, v13 offset:432
	ds_store_2addr_b32 v91, v15, v17 offset1:54
	ds_store_b32 v91, v14 offset:432
	ds_store_2addr_b32 v90, v16, v18 offset1:54
	ds_store_b32 v90, v19 offset:432
	global_wb scope:SCOPE_SE
	s_wait_dscnt 0x0
	s_barrier_signal -1
	s_barrier_wait -1
	global_inv scope:SCOPE_SE
	ds_load_2addr_b32 v[14:15], v48 offset1:162
	ds_load_2addr_b32 v[18:19], v22 offset0:68 offset1:230
	ds_load_2addr_b32 v[16:17], v39 offset0:8 offset1:170
	ds_load_b32 v23, v48 offset:3888
	s_and_saveexec_b32 s1, s0
	s_cbranch_execz .LBB0_19
; %bb.18:
	v_add_nc_u32_e32 v11, 0x100, v48
	v_add_nc_u32_e32 v20, 0xc00, v48
	ds_load_2addr_b32 v[35:36], v40 offset0:66 offset1:228
	ds_load_b32 v118, v48 offset:4392
	ds_load_2addr_b32 v[12:13], v11 offset0:62 offset1:224
	ds_load_2addr_b32 v[37:38], v20 offset0:6 offset1:168
	s_wait_dscnt 0x3
	v_lshrrev_b32_e32 v43, 16, v35
	s_wait_dscnt 0x1
	v_mov_b32_e32 v11, v13
	v_lshrrev_b32_e32 v115, 16, v36
	v_lshrrev_b32_e32 v119, 16, v118
	;; [unrolled: 1-line block ×4, first 2 shown]
	s_wait_dscnt 0x0
	v_lshrrev_b32_e32 v116, 16, v37
	v_lshrrev_b32_e32 v117, 16, v38
.LBB0_19:
	s_wait_alu 0xfffe
	s_or_b32 exec_lo, exec_lo, s1
	s_wait_dscnt 0x3
	v_lshrrev_b32_e32 v13, 16, v15
	s_wait_dscnt 0x2
	v_lshrrev_b32_e32 v27, 16, v18
	v_lshrrev_b32_e32 v28, 16, v19
	v_mul_f16_e32 v29, v114, v15
	s_wait_dscnt 0x1
	v_lshrrev_b32_e32 v31, 16, v16
	v_mul_f16_e32 v30, v114, v13
	v_lshrrev_b32_e32 v32, 16, v17
	s_wait_dscnt 0x0
	v_lshrrev_b32_e32 v40, 16, v23
	v_fma_f16 v13, v4, v13, -v29
	v_mul_f16_e32 v29, v111, v28
	v_fmac_f16_e32 v30, v4, v15
	v_mul_f16_e32 v4, v113, v27
	v_mul_f16_e32 v15, v113, v18
	;; [unrolled: 1-line block ×4, first 2 shown]
	v_fmac_f16_e32 v29, v6, v19
	v_fmac_f16_e32 v4, v5, v18
	v_fma_f16 v5, v5, v27, -v15
	v_fmac_f16_e32 v42, v7, v16
	v_mul_f16_e32 v15, v107, v40
	v_mul_f16_e32 v18, v107, v23
	;; [unrolled: 1-line block ×5, first 2 shown]
	v_fmac_f16_e32 v15, v34, v23
	v_fma_f16 v18, v34, v40, -v18
	v_fma_f16 v7, v7, v31, -v16
	v_fmac_f16_e32 v19, v33, v17
	v_fma_f16 v16, v33, v32, -v27
	v_fma_f16 v6, v6, v28, -v41
	v_add_f16_e32 v17, v30, v15
	v_add_f16_e32 v23, v13, v18
	v_sub_f16_e32 v13, v13, v18
	v_add_f16_e32 v18, v4, v19
	v_add_f16_e32 v27, v5, v16
	v_sub_f16_e32 v4, v4, v19
	v_sub_f16_e32 v5, v5, v16
	v_add_f16_e32 v16, v29, v42
	v_add_f16_e32 v19, v6, v7
	v_sub_f16_e32 v28, v42, v29
	;; [unrolled: 4-line block ×3, first 2 shown]
	v_lshrrev_b32_e32 v24, 16, v14
	v_sub_f16_e32 v30, v18, v17
	v_sub_f16_e32 v31, v27, v23
	;; [unrolled: 1-line block ×6, first 2 shown]
	v_add_f16_e32 v32, v28, v4
	v_add_f16_e32 v33, v6, v5
	v_sub_f16_e32 v34, v28, v4
	v_sub_f16_e32 v40, v6, v5
	v_add_f16_e32 v7, v16, v7
	v_add_f16_e32 v16, v19, v29
	v_sub_f16_e32 v4, v4, v15
	v_sub_f16_e32 v5, v5, v13
	;; [unrolled: 1-line block ×4, first 2 shown]
	v_add_f16_e32 v15, v32, v15
	v_add_f16_e32 v13, v33, v13
	;; [unrolled: 1-line block ×4, first 2 shown]
	v_mul_f16_e32 v17, 0x3a52, v17
	v_mul_f16_e32 v23, 0x3a52, v23
	;; [unrolled: 1-line block ×8, first 2 shown]
	v_fmamk_f16 v7, v7, 0xbcab, v14
	v_fmamk_f16 v16, v16, 0xbcab, v19
	;; [unrolled: 1-line block ×4, first 2 shown]
	v_fma_f16 v24, v30, 0x39e0, -v24
	v_fma_f16 v29, v31, 0x39e0, -v29
	;; [unrolled: 1-line block ×4, first 2 shown]
	v_fmamk_f16 v30, v28, 0xb574, v32
	v_fmamk_f16 v31, v6, 0xb574, v33
	v_fma_f16 v4, v4, 0xbb00, -v32
	v_fma_f16 v5, v5, 0xbb00, -v33
	;; [unrolled: 1-line block ×4, first 2 shown]
	v_add_f16_e32 v18, v18, v7
	v_add_f16_e32 v27, v27, v16
	v_fmac_f16_e32 v30, 0xb70e, v15
	v_fmac_f16_e32 v31, 0xb70e, v13
	v_add_f16_e32 v24, v24, v7
	v_add_f16_e32 v29, v29, v16
	;; [unrolled: 1-line block ×4, first 2 shown]
	v_fmac_f16_e32 v4, 0xb70e, v15
	v_fmac_f16_e32 v6, 0xb70e, v13
	;; [unrolled: 1-line block ×4, first 2 shown]
	v_add_f16_e32 v13, v31, v18
	v_sub_f16_e32 v15, v27, v30
	v_add_f16_e32 v17, v6, v7
	v_sub_f16_e32 v23, v16, v28
	v_sub_f16_e32 v32, v24, v5
	v_add_f16_e32 v33, v4, v29
	v_add_f16_e32 v5, v5, v24
	v_sub_f16_e32 v4, v29, v4
	v_sub_f16_e32 v6, v7, v6
	v_add_f16_e32 v7, v28, v16
	v_sub_f16_e32 v16, v18, v31
	v_add_f16_e32 v18, v30, v27
	v_pack_b32_f16 v14, v14, v19
	v_pack_b32_f16 v13, v13, v15
	;; [unrolled: 1-line block ×7, first 2 shown]
	ds_store_2addr_b32 v48, v14, v13 offset1:162
	ds_store_2addr_b32 v22, v15, v17 offset0:68 offset1:230
	ds_store_2addr_b32 v39, v4, v5 offset0:8 offset1:170
	ds_store_b32 v48, v6 offset:3888
	s_and_saveexec_b32 s1, s0
	s_cbranch_execz .LBB0_21
; %bb.20:
	v_mul_f16_e32 v4, v94, v20
	v_mul_f16_e32 v7, v87, v43
	;; [unrolled: 1-line block ×5, first 2 shown]
	v_fmac_f16_e32 v4, v0, v11
	v_mul_f16_e32 v11, v94, v11
	v_mul_f16_e32 v5, v86, v116
	;; [unrolled: 1-line block ×3, first 2 shown]
	v_fmac_f16_e32 v7, v1, v35
	v_fma_f16 v17, v26, v119, -v17
	v_fma_f16 v0, v0, v20, -v11
	v_mul_f16_e32 v11, v47, v36
	v_mul_f16_e32 v20, v86, v37
	v_fma_f16 v23, v25, v117, -v23
	v_fma_f16 v1, v1, v43, -v24
	v_mul_f16_e32 v13, v89, v117
	v_mul_f16_e32 v14, v95, v119
	v_fmac_f16_e32 v5, v3, v37
	v_fmac_f16_e32 v6, v2, v36
	v_add_f16_e32 v24, v17, v0
	v_fma_f16 v2, v2, v115, -v11
	v_fma_f16 v3, v3, v116, -v20
	v_add_f16_e32 v11, v23, v1
	v_fmac_f16_e32 v13, v25, v38
	v_fmac_f16_e32 v14, v26, v118
	v_sub_f16_e32 v15, v5, v6
	v_add_f16_e32 v25, v2, v3
	v_add_f16_e32 v26, v11, v24
	v_sub_f16_e32 v16, v7, v13
	v_sub_f16_e32 v18, v4, v14
	v_add_f16_e32 v4, v14, v4
	v_add_f16_e32 v7, v13, v7
	;; [unrolled: 1-line block ×3, first 2 shown]
	v_sub_f16_e32 v27, v24, v25
	v_add_f16_e32 v5, v6, v5
	v_sub_f16_e32 v2, v3, v2
	v_sub_f16_e32 v1, v1, v23
	v_add_f16_e32 v6, v21, v26
	v_add_f16_e32 v21, v7, v4
	v_mul_f16_e32 v14, 0x3a52, v27
	v_sub_f16_e32 v27, v4, v5
	v_sub_f16_e32 v0, v0, v17
	;; [unrolled: 1-line block ×3, first 2 shown]
	v_add_f16_e32 v21, v5, v21
	v_sub_f16_e32 v13, v25, v11
	v_mul_f16_e32 v3, 0x3a52, v27
	v_sub_f16_e32 v5, v5, v7
	v_sub_f16_e32 v17, v2, v1
	v_add_f16_e32 v12, v12, v21
	v_sub_f16_e32 v22, v18, v15
	v_add_f16_e32 v15, v15, v16
	v_sub_f16_e32 v27, v0, v2
	v_sub_f16_e32 v16, v16, v18
	v_add_f16_e32 v2, v2, v1
	v_sub_f16_e32 v11, v11, v24
	v_sub_f16_e32 v1, v1, v0
	v_mul_f16_e32 v19, 0x3846, v19
	v_mul_f16_e32 v25, 0x2b26, v13
	v_fmamk_f16 v23, v5, 0x2b26, v3
	v_fmamk_f16 v21, v21, 0xbcab, v12
	v_mul_f16_e32 v17, 0x3846, v17
	v_fmamk_f16 v13, v13, 0x2b26, v14
	v_mul_f16_e32 v5, 0x2b26, v5
	v_mul_f16_e32 v29, 0xbb00, v16
	v_sub_f16_e32 v4, v7, v4
	v_fma_f16 v7, v11, 0xb9e0, -v14
	v_mul_f16_e32 v14, 0xbb00, v1
	v_fmamk_f16 v20, v22, 0xb574, v19
	v_add_f16_e32 v15, v15, v18
	v_fmamk_f16 v26, v26, 0xbcab, v6
	v_add_f16_e32 v18, v23, v21
	;; [unrolled: 2-line block ×3, first 2 shown]
	v_fma_f16 v11, v11, 0x39e0, -v25
	v_fma_f16 v16, v16, 0xbb00, -v19
	;; [unrolled: 1-line block ×7, first 2 shown]
	v_fmac_f16_e32 v20, 0xb70e, v15
	v_add_f16_e32 v13, v13, v26
	v_fmac_f16_e32 v23, 0xb70e, v0
	v_add_f16_e32 v5, v11, v26
	v_fmac_f16_e32 v16, 0xb70e, v15
	v_fmac_f16_e32 v2, 0xb70e, v15
	v_add_f16_e32 v7, v7, v26
	v_add_f16_e32 v3, v3, v21
	v_fmac_f16_e32 v14, 0xb70e, v0
	v_fmac_f16_e32 v1, 0xb70e, v0
	v_add_f16_e32 v0, v4, v21
	v_add_f16_e32 v28, v20, v13
	v_sub_f16_e32 v17, v5, v16
	v_add_f16_e32 v5, v16, v5
	v_sub_f16_e32 v13, v13, v20
	v_add_f16_e32 v16, v23, v18
	v_add_f16_e32 v11, v2, v7
	v_sub_f16_e32 v15, v3, v14
	v_add_f16_e32 v19, v1, v0
	v_sub_f16_e32 v2, v7, v2
	;; [unrolled: 2-line block ×3, first 2 shown]
	v_sub_f16_e32 v4, v18, v23
	v_pack_b32_f16 v1, v12, v6
	v_pack_b32_f16 v6, v16, v13
	v_add_nc_u32_e32 v7, 0x100, v48
	v_pack_b32_f16 v2, v3, v2
	v_pack_b32_f16 v0, v0, v5
	v_add_nc_u32_e32 v3, 0x600, v48
	;; [unrolled: 3-line block ×3, first 2 shown]
	v_pack_b32_f16 v4, v4, v28
	ds_store_2addr_b32 v7, v1, v6 offset0:62 offset1:224
	ds_store_2addr_b32 v3, v2, v0 offset0:66 offset1:228
	;; [unrolled: 1-line block ×3, first 2 shown]
	ds_store_b32 v48, v4 offset:4392
.LBB0_21:
	s_wait_alu 0xfffe
	s_or_b32 exec_lo, exec_lo, s1
	global_wb scope:SCOPE_SE
	s_wait_dscnt 0x0
	s_barrier_signal -1
	s_barrier_wait -1
	global_inv scope:SCOPE_SE
	ds_load_2addr_b32 v[0:1], v48 offset1:126
	v_add_nc_u32_e32 v2, 0x800, v48
	s_mov_b32 s6, 0x8eac7900
	s_mov_b32 s7, 0x3f4ce55c
	v_mad_co_u64_u32 v[17:18], null, s8, v59, 0
	ds_load_2addr_b32 v[2:3], v2 offset0:55 offset1:181
	s_wait_dscnt 0x1
	v_lshrrev_b32_e32 v4, 16, v0
	v_mul_f16_e32 v5, v65, v0
	v_lshrrev_b32_e32 v15, 16, v1
	s_delay_alu instid0(VALU_DEP_3) | instskip(NEXT) | instid1(VALU_DEP_3)
	v_mul_f16_e32 v6, v65, v4
	v_fma_f16 v4, v61, v4, -v5
	s_wait_dscnt 0x0
	v_lshrrev_b32_e32 v11, 16, v2
	v_mul_f16_e32 v7, v64, v2
	v_mul_f16_e32 v12, v63, v15
	v_fmac_f16_e32 v6, v61, v0
	v_cvt_f32_f16_e32 v0, v4
	v_mul_f16_e32 v16, v64, v11
	s_delay_alu instid0(VALU_DEP_4) | instskip(NEXT) | instid1(VALU_DEP_4)
	v_fmac_f16_e32 v12, v60, v1
	v_cvt_f32_f16_e32 v6, v6
	s_delay_alu instid0(VALU_DEP_4)
	v_cvt_f64_f32_e32 v[4:5], v0
	v_fma_f16 v0, v62, v11, -v7
	v_fmac_f16_e32 v16, v62, v2
	v_cvt_f32_f16_e32 v13, v12
	v_mul_f16_e32 v2, v63, v1
	v_cvt_f64_f32_e32 v[6:7], v6
	v_cvt_f32_f16_e32 v0, v0
	s_delay_alu instid0(VALU_DEP_4) | instskip(NEXT) | instid1(VALU_DEP_4)
	v_cvt_f64_f32_e32 v[13:14], v13
	v_fma_f16 v2, v60, v15, -v2
	s_delay_alu instid0(VALU_DEP_3) | instskip(SKIP_2) | instid1(VALU_DEP_4)
	v_cvt_f64_f32_e32 v[11:12], v0
	v_cvt_f32_f16_e32 v0, v16
	v_mad_co_u64_u32 v[15:16], null, s10, v10, 0
	v_cvt_f32_f16_e32 v2, v2
	s_delay_alu instid0(VALU_DEP_3) | instskip(NEXT) | instid1(VALU_DEP_2)
	v_cvt_f64_f32_e32 v[0:1], v0
	v_cvt_f64_f32_e32 v[19:20], v2
	s_delay_alu instid0(VALU_DEP_4) | instskip(NEXT) | instid1(VALU_DEP_1)
	v_mov_b32_e32 v2, v16
	v_mad_co_u64_u32 v[21:22], null, s11, v10, v[2:3]
	v_lshrrev_b32_e32 v2, 16, v3
	s_wait_alu 0xfffe
	v_mul_f64_e32 v[4:5], s[6:7], v[4:5]
	v_mul_f64_e32 v[6:7], s[6:7], v[6:7]
	;; [unrolled: 1-line block ×5, first 2 shown]
	v_and_or_b32 v4, 0x1ff, v5, v4
	v_and_or_b32 v6, 0x1ff, v7, v6
	;; [unrolled: 1-line block ×4, first 2 shown]
	v_bfe_u32 v25, v11, 20, 11
	v_lshrrev_b32_e32 v24, 8, v11
	v_bfe_u32 v27, v13, 20, 11
	v_lshrrev_b32_e32 v26, 8, v13
	v_bfe_u32 v29, v1, 20, 11
	v_mov_b32_e32 v16, v18
	v_and_or_b32 v0, 0x1ff, v1, v0
	v_sub_nc_u32_e32 v30, 0x3f1, v25
	v_sub_nc_u32_e32 v31, 0x3f1, v27
	;; [unrolled: 1-line block ×3, first 2 shown]
	v_add_nc_u32_e32 v29, 0xfffffc10, v29
	v_mad_co_u64_u32 v[22:23], null, s9, v59, v[16:17]
	v_mov_b32_e32 v16, v21
	v_lshrrev_b32_e32 v21, 8, v7
	v_add_nc_u32_e32 v25, 0xfffffc10, v25
	v_lshrrev_b32_e32 v13, 16, v13
	s_delay_alu instid0(VALU_DEP_4) | instskip(SKIP_3) | instid1(VALU_DEP_3)
	v_lshlrev_b64_e32 v[14:15], 2, v[15:16]
	v_mov_b32_e32 v18, v22
	v_bfe_u32 v22, v7, 20, 11
	v_lshrrev_b32_e32 v7, 16, v7
	v_lshlrev_b64_e32 v[16:17], 2, v[17:18]
	v_add_co_u32 v14, s0, s4, v14
	s_wait_alu 0xf1ff
	v_add_co_ci_u32_e64 v15, s0, s5, v15, s0
	v_sub_nc_u32_e32 v28, 0x3f1, v22
	s_delay_alu instid0(VALU_DEP_3) | instskip(SKIP_1) | instid1(VALU_DEP_3)
	v_add_co_u32 v14, s0, v14, v16
	s_wait_alu 0xf1ff
	v_add_co_ci_u32_e64 v15, s0, v15, v17, s0
	v_cmp_ne_u32_e64 s0, 0, v4
	v_mul_f64_e32 v[16:17], s[6:7], v[19:20]
	v_lshrrev_b32_e32 v19, 8, v5
	v_bfe_u32 v20, v5, 20, 11
	v_add_nc_u32_e32 v22, 0xfffffc10, v22
	s_wait_alu 0xf1ff
	v_cndmask_b32_e64 v4, 0, 1, s0
	v_cmp_ne_u32_e64 s0, 0, v6
	v_cmp_gt_i32_e64 s4, 1, v29
	v_sub_nc_u32_e32 v23, 0x3f1, v20
	v_add_nc_u32_e32 v20, 0xfffffc10, v20
	v_and_or_b32 v4, 0xffe, v19, v4
	s_wait_alu 0xf1ff
	v_cndmask_b32_e64 v6, 0, 1, s0
	v_cmp_ne_u32_e64 s0, 0, v10
	v_med3_i32 v19, v23, 0, 13
	v_lshrrev_b32_e32 v23, 8, v1
	v_lshl_or_b32 v32, v20, 12, v4
	v_and_or_b32 v6, 0xffe, v21, v6
	s_wait_alu 0xf1ff
	v_cndmask_b32_e64 v10, 0, 1, s0
	v_cmp_ne_u32_e64 s0, 0, v12
	v_med3_i32 v21, v28, 0, 13
	v_or_b32_e32 v28, 0x1000, v4
	v_mul_f16_e32 v18, v58, v2
	v_and_or_b32 v10, 0xffe, v24, v10
	s_wait_alu 0xf1ff
	v_cndmask_b32_e64 v12, 0, 1, s0
	v_cmp_ne_u32_e64 s0, 0, v4
	v_med3_i32 v24, v30, 0, 13
	v_or_b32_e32 v30, 0x1000, v6
	v_lshrrev_b32_e32 v34, v19, v28
	v_and_or_b32 v12, 0xffe, v26, v12
	s_wait_alu 0xf1ff
	v_cndmask_b32_e64 v4, 0, 1, s0
	v_cmp_ne_u32_e64 s0, 0, v0
	v_med3_i32 v26, v31, 0, 13
	v_lshl_or_b32 v31, v22, 12, v6
	v_lshrrev_b32_e32 v37, v21, v30
	v_lshlrev_b32_e32 v19, v19, v34
	s_wait_alu 0xf1ff
	v_cndmask_b32_e64 v0, 0, 1, s0
	v_cmp_ne_u32_e64 s0, 0, v6
	v_lshl_or_b32 v35, v25, 12, v10
	v_lshlrev_b32_e32 v21, v21, v37
	v_lshl_or_b32 v4, v4, 9, 0x7c00
	v_and_or_b32 v0, 0xffe, v23, v0
	s_wait_alu 0xf1ff
	v_cndmask_b32_e64 v6, 0, 1, s0
	v_med3_i32 v23, v33, 0, 13
	v_or_b32_e32 v33, 0x1000, v10
	v_lshrrev_b32_e32 v5, 16, v5
	v_cmp_ne_u32_e64 s0, 0, v0
	v_or_b32_e32 v38, 0x1000, v0
	v_lshl_or_b32 v39, v29, 12, v0
	v_lshrrev_b32_e32 v40, v24, v33
	v_lshl_or_b32 v6, v6, 9, 0x7c00
	s_wait_alu 0xf1ff
	v_cndmask_b32_e64 v0, 0, 1, s0
	v_cmp_ne_u32_e64 s0, v19, v28
	v_lshrrev_b32_e32 v28, v23, v38
	v_lshlrev_b32_e32 v24, v24, v40
	v_fmac_f16_e32 v18, v57, v3
	v_or_b32_e32 v36, 0x1000, v12
	s_wait_alu 0xf1ff
	v_cndmask_b32_e64 v19, 0, 1, s0
	v_cmp_ne_u32_e64 s0, v21, v30
	v_lshlrev_b32_e32 v23, v23, v28
	v_cvt_f32_f16_e32 v18, v18
	v_lshl_or_b32 v0, v0, 9, 0x7c00
	v_or_b32_e32 v19, v34, v19
	s_wait_alu 0xf1ff
	v_cndmask_b32_e64 v21, 0, 1, s0
	v_cmp_ne_u32_e64 s0, v24, v33
	v_lshrrev_b32_e32 v1, 16, v1
	v_mul_f16_e32 v3, v58, v3
	s_delay_alu instid0(VALU_DEP_4) | instskip(SKIP_3) | instid1(VALU_DEP_2)
	v_or_b32_e32 v21, v37, v21
	s_wait_alu 0xf1ff
	v_cndmask_b32_e64 v24, 0, 1, s0
	v_cmp_gt_i32_e64 s0, 1, v20
	v_or_b32_e32 v24, v40, v24
	s_wait_alu 0xf1ff
	s_delay_alu instid0(VALU_DEP_2) | instskip(SKIP_1) | instid1(VALU_DEP_2)
	v_cndmask_b32_e64 v19, v32, v19, s0
	v_cmp_gt_i32_e64 s0, 1, v22
	v_and_b32_e32 v30, 7, v19
	s_wait_alu 0xf1ff
	s_delay_alu instid0(VALU_DEP_2) | instskip(SKIP_3) | instid1(VALU_DEP_4)
	v_cndmask_b32_e64 v21, v31, v21, s0
	v_cmp_ne_u32_e64 s0, v23, v38
	v_lshrrev_b32_e32 v19, 2, v19
	v_cmp_lt_i32_e64 s2, 5, v30
	v_and_b32_e32 v31, 7, v21
	s_wait_alu 0xf1ff
	v_cndmask_b32_e64 v23, 0, 1, s0
	v_cmp_gt_i32_e64 s0, 1, v25
	v_lshrrev_b32_e32 v21, 2, v21
	v_cmp_eq_u32_e64 s3, 3, v30
	v_cmp_eq_u32_e64 s1, 3, v31
	v_or_b32_e32 v23, v28, v23
	s_wait_alu 0xf1ff
	v_cndmask_b32_e64 v24, v35, v24, s0
	v_cmp_lt_i32_e64 s0, 5, v31
	s_delay_alu instid0(VALU_DEP_3) | instskip(NEXT) | instid1(VALU_DEP_2)
	v_cndmask_b32_e64 v23, v39, v23, s4
	s_or_b32 s0, s1, s0
	v_cmp_eq_u32_e64 s1, 0x40f, v22
	s_wait_alu 0xfffe
	v_add_co_ci_u32_e64 v21, s0, 0, v21, s0
	s_or_b32 s0, s3, s2
	v_and_b32_e32 v28, 7, v23
	s_wait_alu 0xfffe
	v_add_co_ci_u32_e64 v19, s0, 0, v19, s0
	v_cmp_gt_i32_e64 s0, 31, v22
	v_cmp_eq_u32_e64 s2, 0x40f, v20
	s_wait_alu 0xf1ff
	s_delay_alu instid0(VALU_DEP_2) | instskip(SKIP_1) | instid1(VALU_DEP_2)
	v_cndmask_b32_e64 v21, 0x7c00, v21, s0
	v_cmp_gt_i32_e64 s0, 31, v20
	v_cndmask_b32_e64 v6, v21, v6, s1
	s_wait_alu 0xf1ff
	s_delay_alu instid0(VALU_DEP_2)
	v_cndmask_b32_e64 v19, 0x7c00, v19, s0
	v_cmp_lt_i32_e64 s0, 5, v28
	v_cmp_eq_u32_e64 s1, 3, v28
	v_lshrrev_b32_e32 v21, 2, v23
	v_and_or_b32 v6, 0x8000, v7, v6
	v_cndmask_b32_e64 v4, v19, v4, s2
	v_lshrrev_b32_e32 v19, 2, v24
	s_or_b32 s0, s1, s0
	v_cmp_eq_u32_e64 s2, 0x40f, v29
	s_wait_alu 0xfffe
	v_add_co_ci_u32_e64 v7, s0, 0, v21, s0
	v_and_or_b32 v4, 0x8000, v5, v4
	v_and_b32_e32 v5, 0xffff, v6
	v_and_b32_e32 v6, 7, v24
	v_cmp_gt_i32_e64 s0, 31, v29
	s_delay_alu instid0(VALU_DEP_3) | instskip(NEXT) | instid1(VALU_DEP_3)
	v_lshl_or_b32 v4, v4, 16, v5
	v_cmp_eq_u32_e64 s1, 3, v6
	s_wait_alu 0xf1ff
	s_delay_alu instid0(VALU_DEP_3)
	v_cndmask_b32_e64 v7, 0x7c00, v7, s0
	v_cmp_lt_i32_e64 s0, 5, v6
	global_store_b32 v[14:15], v4, off
	v_cvt_f64_f32_e32 v[4:5], v18
	v_cndmask_b32_e64 v0, v7, v0, s2
	s_or_b32 s0, s1, s0
	s_mul_u64 s[2:3], s[8:9], 0x237
	s_wait_alu 0xfffe
	v_add_co_ci_u32_e64 v6, s0, 0, v19, s0
	v_cmp_ne_u32_e64 s0, 0, v10
	v_lshrrev_b32_e32 v10, v26, v36
	v_and_or_b32 v18, 0x8000, v1, v0
	v_fma_f16 v1, v57, v2, -v3
	v_and_or_b32 v2, 0x1ff, v17, v16
	s_wait_alu 0xf1ff
	v_cndmask_b32_e64 v7, 0, 1, s0
	v_cmp_gt_i32_e64 s0, 31, v25
	v_lshlrev_b32_e32 v0, v26, v10
	v_lshrrev_b32_e32 v3, 16, v11
	v_add_nc_u32_e32 v19, 0xfffffc10, v27
	v_lshl_or_b32 v7, v7, 9, 0x7c00
	s_wait_alu 0xf1ff
	v_cndmask_b32_e64 v6, 0x7c00, v6, s0
	v_cmp_eq_u32_e64 s0, 0x40f, v25
	v_lshrrev_b32_e32 v11, 8, v17
	v_bfe_u32 v16, v17, 20, 11
	v_and_b32_e32 v18, 0xffff, v18
	s_lshl_b64 s[10:11], s[2:3], 2
	v_cndmask_b32_e64 v6, v6, v7, s0
	v_cmp_ne_u32_e64 s0, v0, v36
	v_cvt_f32_f16_e32 v0, v1
	s_delay_alu instid0(VALU_DEP_3) | instskip(SKIP_1) | instid1(VALU_DEP_3)
	v_and_or_b32 v6, 0x8000, v3, v6
	s_wait_alu 0xf1ff
	v_cndmask_b32_e64 v7, 0, 1, s0
	v_cmp_ne_u32_e64 s0, 0, v2
	v_cvt_f64_f32_e32 v[0:1], v0
	v_lshl_or_b32 v23, v6, 16, v18
	s_delay_alu instid0(VALU_DEP_4) | instskip(SKIP_4) | instid1(VALU_DEP_3)
	v_or_b32_e32 v3, v10, v7
	s_wait_alu 0xf1ff
	v_cndmask_b32_e64 v2, 0, 1, s0
	v_lshl_or_b32 v7, v19, 12, v12
	v_cmp_gt_i32_e64 s0, 1, v19
	v_and_or_b32 v20, 0xffe, v11, v2
	v_sub_nc_u32_e32 v2, 0x3f1, v16
	s_wait_alu 0xf1ff
	s_delay_alu instid0(VALU_DEP_3)
	v_cndmask_b32_e64 v7, v7, v3, s0
	v_add_nc_u32_e32 v16, 0xfffffc10, v16
	v_or_b32_e32 v10, 0x1000, v20
	v_med3_i32 v11, v2, 0, 13
	v_mul_f64_e32 v[2:3], s[6:7], v[4:5]
	v_add_nc_u32_e32 v4, 0x200, v48
	v_and_b32_e32 v22, 7, v7
	v_lshrrev_b32_e32 v7, 2, v7
	v_lshrrev_b32_e32 v21, v11, v10
	ds_load_2addr_b32 v[4:5], v4 offset0:124 offset1:250
	v_cmp_lt_i32_e64 s0, 5, v22
	v_cmp_eq_u32_e64 s1, 3, v22
	v_lshlrev_b32_e32 v6, v11, v21
	v_lshl_or_b32 v11, v16, 12, v20
	s_delay_alu instid0(VALU_DEP_3) | instskip(NEXT) | instid1(VALU_DEP_2)
	s_or_b32 s0, s1, s0
	v_cmp_ne_u32_e64 s2, v6, v10
	s_wait_alu 0xfffe
	v_add_co_ci_u32_e64 v7, s0, 0, v7, s0
	v_cmp_ne_u32_e64 s0, 0, v12
	s_wait_alu 0xf1ff
	v_cndmask_b32_e64 v6, 0, 1, s2
	s_delay_alu instid0(VALU_DEP_2) | instskip(SKIP_1) | instid1(VALU_DEP_3)
	v_cndmask_b32_e64 v10, 0, 1, s0
	v_cmp_gt_i32_e64 s0, 31, v19
	v_or_b32_e32 v6, v21, v6
	v_mul_f64_e32 v[0:1], s[6:7], v[0:1]
	s_wait_dscnt 0x0
	v_lshrrev_b32_e32 v18, 16, v4
	v_lshl_or_b32 v10, v10, 9, 0x7c00
	s_wait_alu 0xf1ff
	v_cndmask_b32_e64 v12, 0x7c00, v7, s0
	v_cmp_gt_i32_e64 s0, 1, v16
	s_wait_alu 0xf1ff
	s_delay_alu instid0(VALU_DEP_1)
	v_cndmask_b32_e64 v11, v11, v6, s0
	v_add_co_u32 v6, s0, v14, s10
	v_mul_f16_e32 v14, v56, v18
	s_wait_alu 0xf1ff
	v_add_co_ci_u32_e64 v7, s0, s11, v15, s0
	v_cmp_eq_u32_e64 s0, 0x40f, v19
	v_and_or_b32 v2, 0x1ff, v3, v2
	v_fmac_f16_e32 v14, v55, v4
	v_and_b32_e32 v15, 7, v11
	v_bfe_u32 v19, v3, 20, 11
	s_wait_alu 0xf1ff
	v_cndmask_b32_e64 v12, v12, v10, s0
	v_cmp_ne_u32_e64 s2, 0, v2
	v_cvt_f32_f16_e32 v10, v14
	v_cmp_lt_i32_e64 s0, 5, v15
	v_cmp_eq_u32_e64 s1, 3, v15
	v_lshrrev_b32_e32 v15, 2, v11
	s_wait_alu 0xf1ff
	v_cndmask_b32_e64 v2, 0, 1, s2
	v_cvt_f64_f32_e32 v[10:11], v10
	v_lshrrev_b32_e32 v14, 8, v3
	s_or_b32 s0, s1, s0
	v_mul_f16_e32 v4, v56, v4
	s_wait_alu 0xfffe
	v_add_co_ci_u32_e64 v15, s0, 0, v15, s0
	v_cmp_ne_u32_e64 s0, 0, v20
	v_and_or_b32 v2, 0xffe, v14, v2
	v_sub_nc_u32_e32 v14, 0x3f1, v19
	v_fma_f16 v4, v55, v18, -v4
	v_and_or_b32 v18, 0x8000, v13, v12
	s_wait_alu 0xf1ff
	v_cndmask_b32_e64 v20, 0, 1, s0
	v_cmp_gt_i32_e64 s0, 31, v16
	v_or_b32_e32 v21, 0x1000, v2
	v_med3_i32 v14, v14, 0, 13
	v_and_or_b32 v0, 0x1ff, v1, v0
	v_lshl_or_b32 v20, v20, 9, 0x7c00
	s_wait_alu 0xf1ff
	v_cndmask_b32_e64 v15, 0x7c00, v15, s0
	v_cmp_eq_u32_e64 s0, 0x40f, v16
	v_lshrrev_b32_e32 v16, 16, v17
	v_lshrrev_b32_e32 v17, v14, v21
	v_cvt_f32_f16_e32 v4, v4
	v_add_nc_u32_e32 v22, 0xfffffc10, v19
	s_wait_alu 0xf1ff
	v_cndmask_b32_e64 v15, v15, v20, s0
	v_cmp_ne_u32_e64 s0, 0, v0
	v_lshlrev_b32_e32 v14, v14, v17
	v_cvt_f64_f32_e32 v[12:13], v4
	v_bfe_u32 v20, v1, 20, 11
	v_and_or_b32 v16, 0x8000, v16, v15
	s_wait_alu 0xf1ff
	v_cndmask_b32_e64 v0, 0, 1, s0
	v_cmp_ne_u32_e64 s0, v14, v21
	v_lshrrev_b32_e32 v15, 8, v1
	v_add_nc_u32_e32 v4, 0xc00, v48
	v_lshl_or_b32 v19, v22, 12, v2
	v_and_b32_e32 v18, 0xffff, v18
	s_wait_alu 0xf1ff
	v_cndmask_b32_e64 v21, 0, 1, s0
	v_and_or_b32 v0, 0xffe, v15, v0
	ds_load_2addr_b32 v[14:15], v4 offset0:51 offset1:177
	v_sub_nc_u32_e32 v4, 0x3f1, v20
	v_mul_f64_e32 v[10:11], s[6:7], v[10:11]
	v_or_b32_e32 v17, v17, v21
	v_cmp_gt_i32_e64 s0, 1, v22
	v_or_b32_e32 v21, 0x1000, v0
	v_med3_i32 v4, v4, 0, 13
	v_lshl_or_b32 v25, v16, 16, v18
	v_add_nc_u32_e32 v20, 0xfffffc10, v20
	s_wait_alu 0xf1ff
	v_cndmask_b32_e64 v17, v19, v17, s0
	s_movk_i32 s0, 0xfe47
	v_lshrrev_b32_e32 v19, v4, v21
	s_mov_b32 s1, -1
	v_lshl_or_b32 v18, v20, 12, v0
	v_and_b32_e32 v24, 7, v17
	s_wait_alu 0xfffe
	s_mul_u64 s[0:1], s[8:9], s[0:1]
	v_lshlrev_b32_e32 v4, v4, v19
	s_wait_alu 0xfffe
	s_lshl_b64 s[8:9], s[0:1], 2
	v_lshrrev_b32_e32 v16, 2, v17
	v_cmp_lt_i32_e64 s0, 5, v24
	v_cmp_eq_u32_e64 s1, 3, v24
	s_wait_dscnt 0x0
	v_lshrrev_b32_e32 v24, 16, v14
	v_cmp_ne_u32_e64 s2, v4, v21
	v_lshrrev_b32_e32 v3, 16, v3
	s_or_b32 s0, s1, s0
	s_delay_alu instid0(VALU_DEP_3)
	v_mul_f16_e32 v17, v54, v24
	s_wait_alu 0xfffe
	v_add_co_ci_u32_e64 v16, s0, 0, v16, s0
	v_cndmask_b32_e64 v4, 0, 1, s2
	v_cmp_ne_u32_e64 s0, 0, v2
	v_fmac_f16_e32 v17, v53, v14
	v_mul_f64_e32 v[12:13], s[6:7], v[12:13]
	v_mul_f16_e32 v14, v54, v14
	v_or_b32_e32 v4, v19, v4
	s_wait_alu 0xf1ff
	v_cndmask_b32_e64 v2, 0, 1, s0
	v_cmp_gt_i32_e64 s0, 1, v20
	v_cvt_f32_f16_e32 v17, v17
	v_fma_f16 v14, v53, v24, -v14
	v_and_or_b32 v10, 0x1ff, v11, v10
	s_wait_alu 0xf1ff
	v_cndmask_b32_e64 v4, v18, v4, s0
	v_cmp_gt_i32_e64 s0, 31, v22
	v_lshl_or_b32 v2, v2, 9, 0x7c00
	v_cmp_ne_u32_e64 s1, 0, v10
	s_delay_alu instid0(VALU_DEP_4)
	v_and_b32_e32 v26, 7, v4
	s_wait_alu 0xf1ff
	v_cndmask_b32_e64 v21, 0x7c00, v16, s0
	v_cvt_f64_f32_e32 v[16:17], v17
	v_add_co_u32 v18, s0, v6, s8
	s_wait_alu 0xf1ff
	v_add_co_ci_u32_e64 v19, s0, s9, v7, s0
	v_cmp_eq_u32_e64 s0, 0x40f, v22
	v_cndmask_b32_e64 v10, 0, 1, s1
	v_cmp_eq_u32_e64 s1, 3, v26
	v_lshrrev_b32_e32 v4, 2, v4
	v_bfe_u32 v22, v11, 20, 11
	s_wait_alu 0xf1ff
	v_cndmask_b32_e64 v2, v21, v2, s0
	v_cmp_lt_i32_e64 s0, 5, v26
	v_lshrrev_b32_e32 v21, 8, v11
	s_clause 0x1
	global_store_b32 v[6:7], v23, off
	global_store_b32 v[18:19], v25, off
	v_lshrrev_b32_e32 v11, 16, v11
	v_and_or_b32 v27, 0x8000, v3, v2
	s_or_b32 s0, s1, s0
	v_and_or_b32 v10, 0xffe, v21, v10
	s_wait_alu 0xfffe
	v_add_co_ci_u32_e64 v4, s0, 0, v4, s0
	v_sub_nc_u32_e32 v21, 0x3f1, v22
	v_cmp_ne_u32_e64 s0, 0, v0
	v_or_b32_e32 v26, 0x1000, v10
	v_and_or_b32 v3, 0x1ff, v13, v12
	v_lshrrev_b32_e32 v12, 16, v1
	v_med3_i32 v21, v21, 0, 13
	s_wait_alu 0xf1ff
	v_cndmask_b32_e64 v0, 0, 1, s0
	v_cmp_gt_i32_e64 s0, 31, v20
	v_bfe_u32 v28, v13, 20, 11
	v_lshrrev_b32_e32 v2, v21, v26
	s_delay_alu instid0(VALU_DEP_4)
	v_lshl_or_b32 v0, v0, 9, 0x7c00
	s_wait_alu 0xf1ff
	v_cndmask_b32_e64 v4, 0x7c00, v4, s0
	v_cmp_eq_u32_e64 s0, 0x40f, v20
	v_lshlrev_b32_e32 v20, v21, v2
	v_lshrrev_b32_e32 v21, 8, v13
	v_lshrrev_b32_e32 v13, 16, v13
	s_wait_alu 0xf1ff
	v_cndmask_b32_e64 v4, v4, v0, s0
	v_cmp_ne_u32_e64 s0, 0, v3
	v_mul_f64_e32 v[0:1], s[6:7], v[16:17]
	s_delay_alu instid0(VALU_DEP_3) | instskip(SKIP_1) | instid1(VALU_DEP_3)
	v_and_or_b32 v4, 0x8000, v12, v4
	s_wait_alu 0xf1ff
	v_cndmask_b32_e64 v3, 0, 1, s0
	v_cmp_ne_u32_e64 s0, v20, v26
	v_add_nc_u32_e32 v20, 0xfffffc10, v22
	v_and_b32_e32 v12, 0xffff, v27
	s_delay_alu instid0(VALU_DEP_4)
	v_and_or_b32 v21, 0xffe, v21, v3
	s_wait_alu 0xf1ff
	v_cndmask_b32_e64 v16, 0, 1, s0
	v_cvt_f32_f16_e32 v3, v14
	v_sub_nc_u32_e32 v14, 0x3f1, v28
	v_lshl_or_b32 v17, v20, 12, v10
	v_or_b32_e32 v22, 0x1000, v21
	v_or_b32_e32 v16, v2, v16
	v_cmp_gt_i32_e64 s0, 1, v20
	v_med3_i32 v14, v14, 0, 13
	v_cvt_f64_f32_e32 v[2:3], v3
	v_lshl_or_b32 v23, v4, 16, v12
	v_cmp_eq_u32_e64 s2, 0x40f, v20
	s_wait_alu 0xf1ff
	v_cndmask_b32_e64 v16, v17, v16, s0
	v_lshrrev_b32_e32 v17, v14, v22
	v_add_co_u32 v6, s0, v18, s10
	s_wait_alu 0xf1ff
	v_add_co_ci_u32_e64 v7, s0, s11, v19, s0
	s_delay_alu instid0(VALU_DEP_3) | instskip(SKIP_3) | instid1(VALU_DEP_4)
	v_lshlrev_b32_e32 v12, v14, v17
	v_and_b32_e32 v4, 7, v16
	v_lshrrev_b32_e32 v14, 16, v5
	v_add_nc_u32_e32 v18, 0xfffffc10, v28
	v_cmp_ne_u32_e64 s1, v12, v22
	s_delay_alu instid0(VALU_DEP_4) | instskip(NEXT) | instid1(VALU_DEP_4)
	v_cmp_lt_i32_e64 s0, 5, v4
	v_mul_f16_e32 v19, v52, v14
	s_wait_alu 0xf1ff
	s_delay_alu instid0(VALU_DEP_3)
	v_cndmask_b32_e64 v12, 0, 1, s1
	v_cmp_eq_u32_e64 s1, 3, v4
	v_lshrrev_b32_e32 v4, 2, v16
	v_lshl_or_b32 v16, v18, 12, v21
	v_and_or_b32 v0, 0x1ff, v1, v0
	v_or_b32_e32 v12, v17, v12
	s_or_b32 s0, s1, s0
	v_fmac_f16_e32 v19, v51, v5
	s_wait_alu 0xfffe
	v_add_co_ci_u32_e64 v4, s0, 0, v4, s0
	v_cmp_gt_i32_e64 s0, 1, v18
	v_bfe_u32 v22, v1, 20, 11
	v_cvt_f32_f16_e32 v17, v19
	v_lshrrev_b32_e32 v19, 8, v1
	v_lshrrev_b32_e32 v1, 16, v1
	s_wait_alu 0xf1ff
	v_cndmask_b32_e64 v12, v16, v12, s0
	v_cmp_ne_u32_e64 s0, 0, v0
	v_cvt_f64_f32_e32 v[16:17], v17
	v_mul_f64_e32 v[2:3], s[6:7], v[2:3]
	s_delay_alu instid0(VALU_DEP_4)
	v_and_b32_e32 v24, 7, v12
	s_wait_alu 0xf1ff
	v_cndmask_b32_e64 v0, 0, 1, s0
	v_cmp_ne_u32_e64 s0, 0, v10
	v_lshrrev_b32_e32 v12, 2, v12
	v_cmp_eq_u32_e64 s1, 3, v24
	s_delay_alu instid0(VALU_DEP_4)
	v_and_or_b32 v0, 0xffe, v19, v0
	s_wait_alu 0xf1ff
	v_cndmask_b32_e64 v10, 0, 1, s0
	v_cmp_gt_i32_e64 s0, 31, v20
	v_sub_nc_u32_e32 v19, 0x3f1, v22
	v_add_nc_u32_e32 v22, 0xfffffc10, v22
	v_or_b32_e32 v25, 0x1000, v0
	v_lshl_or_b32 v10, v10, 9, 0x7c00
	s_wait_alu 0xf1ff
	v_cndmask_b32_e64 v4, 0x7c00, v4, s0
	v_cmp_lt_i32_e64 s0, 5, v24
	v_med3_i32 v19, v19, 0, 13
	s_delay_alu instid0(VALU_DEP_3) | instskip(NEXT) | instid1(VALU_DEP_3)
	v_cndmask_b32_e64 v4, v4, v10, s2
	s_or_b32 s0, s1, s0
	s_delay_alu instid0(VALU_DEP_2)
	v_lshrrev_b32_e32 v10, v19, v25
	s_wait_alu 0xfffe
	v_add_co_ci_u32_e64 v12, s0, 0, v12, s0
	v_cmp_ne_u32_e64 s0, 0, v21
	v_and_or_b32 v21, 0x8000, v11, v4
	v_lshlrev_b32_e32 v19, v19, v10
	s_wait_alu 0xf1ff
	s_delay_alu instid0(VALU_DEP_3) | instskip(SKIP_1) | instid1(VALU_DEP_2)
	v_cndmask_b32_e64 v20, 0, 1, s0
	v_cmp_gt_i32_e64 s0, 31, v18
	v_lshl_or_b32 v20, v20, 9, 0x7c00
	s_wait_alu 0xf1ff
	s_delay_alu instid0(VALU_DEP_2) | instskip(SKIP_3) | instid1(VALU_DEP_2)
	v_cndmask_b32_e64 v12, 0x7c00, v12, s0
	v_cmp_ne_u32_e64 s0, v19, v25
	v_and_or_b32 v2, 0x1ff, v3, v2
	s_wait_alu 0xf1ff
	v_cndmask_b32_e64 v19, 0, 1, s0
	v_cmp_eq_u32_e64 s0, 0x40f, v18
	v_lshrrev_b32_e32 v18, 16, v15
	s_delay_alu instid0(VALU_DEP_3) | instskip(SKIP_1) | instid1(VALU_DEP_3)
	v_or_b32_e32 v10, v10, v19
	s_wait_alu 0xf1ff
	v_cndmask_b32_e64 v11, v12, v20, s0
	v_mul_f16_e32 v12, v52, v5
	v_mul_f64_e32 v[4:5], s[6:7], v[16:17]
	v_lshl_or_b32 v16, v22, 12, v0
	v_cmp_gt_i32_e64 s0, 1, v22
	v_and_or_b32 v13, 0x8000, v13, v11
	v_fma_f16 v12, v51, v14, -v12
	v_and_b32_e32 v19, 0xffff, v21
	v_mul_f16_e32 v21, v50, v18
	s_wait_alu 0xf1ff
	v_cndmask_b32_e64 v14, v16, v10, s0
	v_cmp_ne_u32_e64 s0, 0, v2
	v_cvt_f32_f16_e32 v10, v12
	v_lshrrev_b32_e32 v12, 8, v3
	v_bfe_u32 v16, v3, 20, 11
	v_and_b32_e32 v17, 7, v14
	s_wait_alu 0xf1ff
	v_cndmask_b32_e64 v2, 0, 1, s0
	v_cvt_f64_f32_e32 v[10:11], v10
	v_lshl_or_b32 v19, v13, 16, v19
	v_lshrrev_b32_e32 v13, 2, v14
	v_cmp_lt_i32_e64 s0, 5, v17
	v_and_or_b32 v2, 0xffe, v12, v2
	v_sub_nc_u32_e32 v12, 0x3f1, v16
	v_cmp_eq_u32_e64 s1, 3, v17
	v_fmac_f16_e32 v21, v49, v15
	v_mul_f16_e32 v15, v50, v15
	v_or_b32_e32 v20, 0x1000, v2
	v_med3_i32 v12, v12, 0, 13
	s_or_b32 s0, s1, s0
	s_wait_alu 0xfffe
	v_add_co_ci_u32_e64 v13, s0, 0, v13, s0
	s_delay_alu instid0(VALU_DEP_2) | instskip(SKIP_2) | instid1(VALU_DEP_3)
	v_lshrrev_b32_e32 v14, v12, v20
	v_cmp_ne_u32_e64 s0, 0, v0
	v_fma_f16 v15, v49, v18, -v15
	v_lshlrev_b32_e32 v17, v12, v14
	s_wait_alu 0xf1ff
	s_delay_alu instid0(VALU_DEP_3)
	v_cndmask_b32_e64 v0, 0, 1, s0
	v_cvt_f32_f16_e32 v12, v21
	v_cmp_gt_i32_e64 s0, 31, v22
	v_and_or_b32 v4, 0x1ff, v5, v4
	v_bfe_u32 v24, v5, 20, 11
	v_lshl_or_b32 v0, v0, 9, 0x7c00
	v_cvt_f32_f16_e32 v15, v15
	s_wait_alu 0xf1ff
	v_cndmask_b32_e64 v21, 0x7c00, v13, s0
	v_cvt_f64_f32_e32 v[12:13], v12
	v_cmp_ne_u32_e64 s0, v17, v20
	v_add_nc_u32_e32 v20, 0xfffffc10, v16
	v_lshrrev_b32_e32 v16, 8, v5
	v_lshrrev_b32_e32 v5, 16, v5
	s_wait_alu 0xf1ff
	v_cndmask_b32_e64 v17, 0, 1, s0
	v_cmp_ne_u32_e64 s0, 0, v4
	v_mul_f64_e32 v[10:11], s[6:7], v[10:11]
	s_delay_alu instid0(VALU_DEP_3) | instskip(SKIP_1) | instid1(VALU_DEP_3)
	v_or_b32_e32 v14, v14, v17
	s_wait_alu 0xf1ff
	v_cndmask_b32_e64 v4, 0, 1, s0
	v_lshl_or_b32 v17, v20, 12, v2
	v_cmp_gt_i32_e64 s0, 1, v20
	s_delay_alu instid0(VALU_DEP_3) | instskip(SKIP_2) | instid1(VALU_DEP_3)
	v_and_or_b32 v4, 0xffe, v16, v4
	v_sub_nc_u32_e32 v16, 0x3f1, v24
	s_wait_alu 0xf1ff
	v_cndmask_b32_e64 v18, v17, v14, s0
	v_cmp_eq_u32_e64 s0, 0x40f, v22
	v_cvt_f64_f32_e32 v[14:15], v15
	v_or_b32_e32 v25, 0x1000, v4
	v_med3_i32 v26, v16, 0, 13
	v_add_nc_u32_e32 v24, 0xfffffc10, v24
	s_wait_alu 0xf1ff
	v_cndmask_b32_e64 v0, v21, v0, s0
	v_and_b32_e32 v21, 7, v18
	v_add_co_u32 v16, s0, v6, s8
	v_lshrrev_b32_e32 v22, v26, v25
	s_wait_alu 0xf1ff
	v_add_co_ci_u32_e64 v17, s0, s9, v7, s0
	v_cmp_lt_i32_e64 s0, 5, v21
	v_cmp_eq_u32_e64 s1, 3, v21
	v_lshrrev_b32_e32 v18, 2, v18
	v_lshlrev_b32_e32 v26, v26, v22
	v_and_or_b32 v27, 0x8000, v1, v0
	s_delay_alu instid0(VALU_DEP_4)
	s_or_b32 s0, s1, s0
	v_mul_f64_e32 v[0:1], s[6:7], v[12:13]
	s_wait_alu 0xfffe
	v_add_co_ci_u32_e64 v12, s0, 0, v18, s0
	v_cmp_ne_u32_e64 s2, v26, v25
	v_cmp_ne_u32_e64 s0, 0, v2
	v_lshl_or_b32 v18, v24, 12, v4
	s_wait_alu 0xf1ff
	s_delay_alu instid0(VALU_DEP_3) | instskip(NEXT) | instid1(VALU_DEP_3)
	v_cndmask_b32_e64 v21, 0, 1, s2
	v_cndmask_b32_e64 v2, 0, 1, s0
	v_cmp_gt_i32_e64 s0, 31, v20
	v_and_or_b32 v10, 0x1ff, v11, v10
	s_delay_alu instid0(VALU_DEP_4) | instskip(NEXT) | instid1(VALU_DEP_4)
	v_or_b32_e32 v13, v22, v21
	v_lshl_or_b32 v2, v2, 9, 0x7c00
	s_wait_alu 0xf1ff
	v_cndmask_b32_e64 v12, 0x7c00, v12, s0
	v_cmp_gt_i32_e64 s0, 1, v24
	v_lshrrev_b32_e32 v21, 8, v11
	s_wait_alu 0xf1ff
	s_delay_alu instid0(VALU_DEP_2) | instskip(SKIP_2) | instid1(VALU_DEP_3)
	v_cndmask_b32_e64 v13, v18, v13, s0
	v_cmp_eq_u32_e64 s0, 0x40f, v20
	v_lshrrev_b32_e32 v18, 16, v3
	v_and_b32_e32 v20, 7, v13
	s_wait_alu 0xf1ff
	s_delay_alu instid0(VALU_DEP_3)
	v_cndmask_b32_e64 v12, v12, v2, s0
	v_cmp_ne_u32_e64 s0, 0, v10
	v_mul_f64_e32 v[2:3], s[6:7], v[14:15]
	v_bfe_u32 v14, v11, 20, 11
	v_cmp_eq_u32_e64 s1, 3, v20
	v_lshrrev_b32_e32 v13, 2, v13
	s_wait_alu 0xf1ff
	v_cndmask_b32_e64 v10, 0, 1, s0
	v_cmp_lt_i32_e64 s0, 5, v20
	v_and_or_b32 v12, 0x8000, v18, v12
	v_and_b32_e32 v15, 0xffff, v27
	v_sub_nc_u32_e32 v18, 0x3f1, v14
	v_and_or_b32 v10, 0xffe, v21, v10
	s_or_b32 s0, s1, s0
	v_and_or_b32 v0, 0x1ff, v1, v0
	s_wait_alu 0xfffe
	v_add_co_ci_u32_e64 v13, s0, 0, v13, s0
	v_lshl_or_b32 v12, v12, 16, v15
	v_or_b32_e32 v15, 0x1000, v10
	v_med3_i32 v18, v18, 0, 13
	v_cmp_ne_u32_e64 s0, 0, v4
	v_lshrrev_b32_e32 v21, 8, v1
	v_bfe_u32 v22, v1, 20, 11
	v_add_nc_u32_e32 v14, 0xfffffc10, v14
	v_lshrrev_b32_e32 v20, v18, v15
	s_wait_alu 0xf1ff
	v_cndmask_b32_e64 v4, 0, 1, s0
	v_cmp_gt_i32_e64 s0, 31, v24
	v_lshrrev_b32_e32 v11, 16, v11
	v_lshrrev_b32_e32 v1, 16, v1
	v_lshlrev_b32_e32 v18, v18, v20
	v_lshl_or_b32 v4, v4, 9, 0x7c00
	s_wait_alu 0xf1ff
	v_cndmask_b32_e64 v13, 0x7c00, v13, s0
	v_cmp_ne_u32_e64 s0, 0, v0
	s_wait_alu 0xf1ff
	s_delay_alu instid0(VALU_DEP_1) | instskip(SKIP_3) | instid1(VALU_DEP_4)
	v_cndmask_b32_e64 v0, 0, 1, s0
	v_cmp_ne_u32_e64 s0, v18, v15
	v_sub_nc_u32_e32 v18, 0x3f1, v22
	v_and_or_b32 v2, 0x1ff, v3, v2
	v_and_or_b32 v0, 0xffe, v21, v0
	s_wait_alu 0xf1ff
	v_cndmask_b32_e64 v15, 0, 1, s0
	v_cmp_eq_u32_e64 s0, 0x40f, v24
	v_med3_i32 v18, v18, 0, 13
	v_lshrrev_b32_e32 v21, 8, v3
	v_bfe_u32 v24, v3, 20, 11
	s_wait_alu 0xf1ff
	v_cndmask_b32_e64 v4, v13, v4, s0
	v_or_b32_e32 v13, v20, v15
	v_lshl_or_b32 v15, v14, 12, v10
	v_or_b32_e32 v20, 0x1000, v0
	v_cmp_gt_i32_e64 s0, 1, v14
	v_and_or_b32 v4, 0x8000, v5, v4
	v_sub_nc_u32_e32 v5, 0x3f1, v24
	s_wait_alu 0xf1ff
	s_delay_alu instid0(VALU_DEP_3)
	v_cndmask_b32_e64 v13, v15, v13, s0
	v_lshrrev_b32_e32 v15, v18, v20
	v_cmp_ne_u32_e64 s0, 0, v2
	v_med3_i32 v5, v5, 0, 13
	v_and_b32_e32 v4, 0xffff, v4
	v_and_b32_e32 v25, 7, v13
	v_lshlrev_b32_e32 v18, v18, v15
	s_wait_alu 0xf1ff
	v_cndmask_b32_e64 v2, 0, 1, s0
	v_lshrrev_b32_e32 v13, 2, v13
	v_cmp_lt_i32_e64 s0, 5, v25
	v_cmp_ne_u32_e64 s1, v18, v20
	s_delay_alu instid0(VALU_DEP_4) | instskip(SKIP_2) | instid1(VALU_DEP_3)
	v_and_or_b32 v2, 0xffe, v21, v2
	v_add_nc_u32_e32 v21, 0xfffffc10, v22
	s_wait_alu 0xf1ff
	v_cndmask_b32_e64 v18, 0, 1, s1
	v_cmp_eq_u32_e64 s1, 3, v25
	v_or_b32_e32 v20, 0x1000, v2
	v_lshl_or_b32 v22, v21, 12, v0
	s_delay_alu instid0(VALU_DEP_4) | instskip(NEXT) | instid1(VALU_DEP_4)
	v_or_b32_e32 v15, v15, v18
	s_or_b32 s0, s1, s0
	s_delay_alu instid0(VALU_DEP_3) | instskip(SKIP_3) | instid1(VALU_DEP_3)
	v_lshrrev_b32_e32 v18, v5, v20
	s_wait_alu 0xfffe
	v_add_co_ci_u32_e64 v13, s0, 0, v13, s0
	v_cmp_gt_i32_e64 s0, 1, v21
	v_lshlrev_b32_e32 v5, v5, v18
	s_wait_alu 0xf1ff
	s_delay_alu instid0(VALU_DEP_2) | instskip(SKIP_1) | instid1(VALU_DEP_2)
	v_cndmask_b32_e64 v15, v22, v15, s0
	v_cmp_ne_u32_e64 s0, 0, v10
	v_and_b32_e32 v22, 7, v15
	s_wait_alu 0xf1ff
	s_delay_alu instid0(VALU_DEP_2) | instskip(SKIP_3) | instid1(VALU_DEP_4)
	v_cndmask_b32_e64 v10, 0, 1, s0
	v_cmp_ne_u32_e64 s0, v5, v20
	v_add_nc_u32_e32 v20, 0xfffffc10, v24
	v_cmp_eq_u32_e64 s1, 3, v22
	v_lshl_or_b32 v10, v10, 9, 0x7c00
	s_wait_alu 0xf1ff
	v_cndmask_b32_e64 v5, 0, 1, s0
	v_cmp_gt_i32_e64 s0, 31, v14
	v_cmp_gt_i32_e64 s2, 1, v20
	s_delay_alu instid0(VALU_DEP_3) | instskip(SKIP_4) | instid1(VALU_DEP_3)
	v_or_b32_e32 v5, v18, v5
	v_lshl_or_b32 v18, v20, 12, v2
	s_wait_alu 0xf1ff
	v_cndmask_b32_e64 v13, 0x7c00, v13, s0
	v_cmp_lt_i32_e64 s0, 5, v22
	v_cndmask_b32_e64 v5, v18, v5, s2
	v_cmp_eq_u32_e64 s2, 0x40f, v14
	s_delay_alu instid0(VALU_DEP_3) | instskip(NEXT) | instid1(VALU_DEP_2)
	s_or_b32 s0, s1, s0
	v_and_b32_e32 v14, 7, v5
	s_delay_alu instid0(VALU_DEP_2)
	v_cndmask_b32_e64 v10, v13, v10, s2
	v_lshrrev_b32_e32 v13, 2, v15
	v_lshrrev_b32_e32 v5, 2, v5
	v_cmp_gt_i32_e64 s2, 31, v21
	v_cmp_eq_u32_e64 s1, 3, v14
	v_and_or_b32 v10, 0x8000, v11, v10
	s_wait_alu 0xfffe
	v_add_co_ci_u32_e64 v13, s0, 0, v13, s0
	v_cmp_ne_u32_e64 s0, 0, v0
	s_delay_alu instid0(VALU_DEP_3) | instskip(SKIP_1) | instid1(VALU_DEP_3)
	v_lshl_or_b32 v10, v10, 16, v4
	s_wait_alu 0xf1ff
	v_cndmask_b32_e64 v13, 0x7c00, v13, s2
	s_delay_alu instid0(VALU_DEP_3) | instskip(SKIP_1) | instid1(VALU_DEP_2)
	v_cndmask_b32_e64 v0, 0, 1, s0
	v_cmp_lt_i32_e64 s0, 5, v14
	v_lshl_or_b32 v0, v0, 9, 0x7c00
	s_delay_alu instid0(VALU_DEP_2) | instskip(SKIP_4) | instid1(VALU_DEP_1)
	s_or_b32 s0, s1, s0
	s_wait_alu 0xfffe
	v_add_co_ci_u32_e64 v5, s0, 0, v5, s0
	v_cmp_ne_u32_e64 s0, 0, v2
	s_wait_alu 0xf1ff
	v_cndmask_b32_e64 v2, 0, 1, s0
	v_cmp_eq_u32_e64 s0, 0x40f, v21
	s_delay_alu instid0(VALU_DEP_2) | instskip(SKIP_1) | instid1(VALU_DEP_2)
	v_lshl_or_b32 v2, v2, 9, 0x7c00
	s_wait_alu 0xf1ff
	v_cndmask_b32_e64 v0, v13, v0, s0
	v_cmp_gt_i32_e64 s0, 31, v20
	s_delay_alu instid0(VALU_DEP_2) | instskip(SKIP_1) | instid1(VALU_DEP_2)
	v_and_or_b32 v0, 0x8000, v1, v0
	s_wait_alu 0xf1ff
	v_cndmask_b32_e64 v5, 0x7c00, v5, s0
	v_cmp_eq_u32_e64 s0, 0x40f, v20
	s_delay_alu instid0(VALU_DEP_3) | instskip(SKIP_1) | instid1(VALU_DEP_2)
	v_and_b32_e32 v0, 0xffff, v0
	s_wait_alu 0xf1ff
	v_cndmask_b32_e64 v1, v5, v2, s0
	v_lshrrev_b32_e32 v5, 16, v3
	v_add_co_u32 v2, s0, v16, s10
	s_wait_alu 0xf1ff
	v_add_co_ci_u32_e64 v3, s0, s11, v17, s0
	s_delay_alu instid0(VALU_DEP_3) | instskip(NEXT) | instid1(VALU_DEP_3)
	v_and_or_b32 v1, 0x8000, v5, v1
	v_add_co_u32 v4, s0, v2, s8
	s_wait_alu 0xf1ff
	s_delay_alu instid0(VALU_DEP_3) | instskip(NEXT) | instid1(VALU_DEP_3)
	v_add_co_ci_u32_e64 v5, s0, s9, v3, s0
	v_lshl_or_b32 v11, v1, 16, v0
	s_delay_alu instid0(VALU_DEP_3) | instskip(SKIP_1) | instid1(VALU_DEP_3)
	v_add_co_u32 v0, s0, v4, s10
	s_wait_alu 0xf1ff
	v_add_co_ci_u32_e64 v1, s0, s11, v5, s0
	s_clause 0x1
	global_store_b32 v[6:7], v23, off
	global_store_b32 v[16:17], v19, off
	;; [unrolled: 1-line block ×5, first 2 shown]
	s_and_b32 exec_lo, exec_lo, vcc_lo
	s_cbranch_execz .LBB0_23
; %bb.22:
	s_clause 0x1
	global_load_b32 v2, v[8:9], off offset:2016
	global_load_b32 v4, v[8:9], off offset:4284
	ds_load_b32 v3, v48 offset:2016
	ds_load_b32 v5, v48 offset:4284
	s_wait_dscnt 0x1
	v_lshrrev_b32_e32 v6, 16, v3
	s_wait_dscnt 0x0
	v_lshrrev_b32_e32 v9, 16, v5
	s_wait_loadcnt 0x1
	v_lshrrev_b32_e32 v7, 16, v2
	s_wait_loadcnt 0x0
	v_lshrrev_b32_e32 v10, 16, v4
	s_delay_alu instid0(VALU_DEP_2) | instskip(SKIP_1) | instid1(VALU_DEP_3)
	v_mul_f16_e32 v8, v6, v7
	v_mul_f16_e32 v7, v3, v7
	;; [unrolled: 1-line block ×3, first 2 shown]
	s_delay_alu instid0(VALU_DEP_3) | instskip(NEXT) | instid1(VALU_DEP_3)
	v_fmac_f16_e32 v8, v3, v2
	v_fma_f16 v2, v2, v6, -v7
	v_mul_f16_e32 v6, v5, v10
	s_delay_alu instid0(VALU_DEP_4) | instskip(NEXT) | instid1(VALU_DEP_4)
	v_fmac_f16_e32 v11, v5, v4
	v_cvt_f32_f16_e32 v3, v8
	s_delay_alu instid0(VALU_DEP_4) | instskip(NEXT) | instid1(VALU_DEP_4)
	v_cvt_f32_f16_e32 v5, v2
	v_fma_f16 v6, v4, v9, -v6
	s_delay_alu instid0(VALU_DEP_4) | instskip(NEXT) | instid1(VALU_DEP_4)
	v_cvt_f32_f16_e32 v7, v11
	v_cvt_f64_f32_e32 v[2:3], v3
	s_delay_alu instid0(VALU_DEP_4) | instskip(NEXT) | instid1(VALU_DEP_4)
	v_cvt_f64_f32_e32 v[4:5], v5
	v_cvt_f32_f16_e32 v8, v6
	s_delay_alu instid0(VALU_DEP_4) | instskip(NEXT) | instid1(VALU_DEP_2)
	v_cvt_f64_f32_e32 v[6:7], v7
	v_cvt_f64_f32_e32 v[8:9], v8
	v_mul_f64_e32 v[2:3], s[6:7], v[2:3]
	v_mul_f64_e32 v[4:5], s[6:7], v[4:5]
	s_delay_alu instid0(VALU_DEP_4) | instskip(NEXT) | instid1(VALU_DEP_4)
	v_mul_f64_e32 v[6:7], s[6:7], v[6:7]
	v_mul_f64_e32 v[8:9], s[6:7], v[8:9]
	s_delay_alu instid0(VALU_DEP_4) | instskip(NEXT) | instid1(VALU_DEP_4)
	v_and_or_b32 v2, 0x1ff, v3, v2
	v_and_or_b32 v4, 0x1ff, v5, v4
	v_lshrrev_b32_e32 v10, 8, v3
	v_and_or_b32 v6, 0x1ff, v7, v6
	v_bfe_u32 v11, v3, 20, 11
	v_cmp_ne_u32_e32 vcc_lo, 0, v2
	v_lshrrev_b32_e32 v12, 8, v5
	v_and_or_b32 v8, 0x1ff, v9, v8
	v_bfe_u32 v13, v5, 20, 11
	v_lshrrev_b32_e32 v14, 8, v7
	s_wait_alu 0xfffd
	v_cndmask_b32_e64 v2, 0, 1, vcc_lo
	v_cmp_ne_u32_e32 vcc_lo, 0, v4
	v_bfe_u32 v15, v7, 20, 11
	v_bfe_u32 v17, v9, 20, 11
	v_sub_nc_u32_e32 v18, 0x3f1, v11
	v_and_or_b32 v2, 0xffe, v10, v2
	s_wait_alu 0xfffd
	v_cndmask_b32_e64 v4, 0, 1, vcc_lo
	v_cmp_ne_u32_e32 vcc_lo, 0, v6
	v_add_nc_u32_e32 v11, 0xfffffc10, v11
	v_sub_nc_u32_e32 v19, 0x3f1, v13
	v_lshrrev_b32_e32 v16, 8, v9
	v_and_or_b32 v4, 0xffe, v12, v4
	s_wait_alu 0xfffd
	v_cndmask_b32_e64 v6, 0, 1, vcc_lo
	v_cmp_ne_u32_e32 vcc_lo, 0, v8
	v_add_nc_u32_e32 v13, 0xfffffc10, v13
	v_sub_nc_u32_e32 v20, 0x3f1, v15
	v_sub_nc_u32_e32 v21, 0x3f1, v17
	v_med3_i32 v10, v18, 0, 13
	s_wait_alu 0xfffd
	v_cndmask_b32_e64 v8, 0, 1, vcc_lo
	v_cmp_ne_u32_e32 vcc_lo, 0, v2
	v_med3_i32 v12, v19, 0, 13
	v_and_or_b32 v6, 0xffe, v14, v6
	v_or_b32_e32 v18, 0x1000, v2
	v_lshl_or_b32 v19, v11, 12, v2
	s_wait_alu 0xfffd
	v_cndmask_b32_e64 v2, 0, 1, vcc_lo
	v_cmp_ne_u32_e32 vcc_lo, 0, v4
	v_add_nc_u32_e32 v15, 0xfffffc10, v15
	v_med3_i32 v14, v20, 0, 13
	v_and_or_b32 v8, 0xffe, v16, v8
	v_med3_i32 v16, v21, 0, 13
	v_or_b32_e32 v20, 0x1000, v4
	v_lshl_or_b32 v21, v13, 12, v4
	s_wait_alu 0xfffd
	v_cndmask_b32_e64 v4, 0, 1, vcc_lo
	v_cmp_ne_u32_e32 vcc_lo, 0, v6
	v_lshrrev_b32_e32 v26, v10, v18
	v_add_nc_u32_e32 v17, 0xfffffc10, v17
	v_or_b32_e32 v22, 0x1000, v6
	v_lshl_or_b32 v23, v15, 12, v6
	s_wait_alu 0xfffd
	v_cndmask_b32_e64 v6, 0, 1, vcc_lo
	v_cmp_ne_u32_e32 vcc_lo, 0, v8
	v_lshrrev_b32_e32 v27, v12, v20
	v_lshlrev_b32_e32 v10, v10, v26
	v_or_b32_e32 v24, 0x1000, v8
	v_lshl_or_b32 v25, v17, 12, v8
	s_wait_alu 0xfffd
	v_cndmask_b32_e64 v8, 0, 1, vcc_lo
	v_lshrrev_b32_e32 v28, v14, v22
	v_lshlrev_b32_e32 v12, v12, v27
	v_cmp_ne_u32_e32 vcc_lo, v10, v18
	v_lshrrev_b32_e32 v29, v16, v24
	v_lshl_or_b32 v2, v2, 9, 0x7c00
	v_lshlrev_b32_e32 v14, v14, v28
	v_lshl_or_b32 v6, v6, 9, 0x7c00
	s_wait_alu 0xfffd
	v_cndmask_b32_e64 v10, 0, 1, vcc_lo
	v_cmp_ne_u32_e32 vcc_lo, v12, v20
	v_lshlrev_b32_e32 v16, v16, v29
	v_lshl_or_b32 v4, v4, 9, 0x7c00
	v_lshrrev_b32_e32 v3, 16, v3
	v_or_b32_e32 v10, v26, v10
	s_wait_alu 0xfffd
	v_cndmask_b32_e64 v12, 0, 1, vcc_lo
	v_cmp_ne_u32_e32 vcc_lo, v14, v22
	v_lshrrev_b32_e32 v7, 16, v7
	v_lshl_or_b32 v8, v8, 9, 0x7c00
	v_lshrrev_b32_e32 v5, 16, v5
	v_or_b32_e32 v12, v27, v12
	s_wait_alu 0xfffd
	v_cndmask_b32_e64 v14, 0, 1, vcc_lo
	v_cmp_ne_u32_e32 vcc_lo, v16, v24
	v_lshrrev_b32_e32 v9, 16, v9
	s_delay_alu instid0(VALU_DEP_3) | instskip(SKIP_3) | instid1(VALU_DEP_2)
	v_or_b32_e32 v14, v28, v14
	s_wait_alu 0xfffd
	v_cndmask_b32_e64 v16, 0, 1, vcc_lo
	v_cmp_gt_i32_e32 vcc_lo, 1, v11
	v_or_b32_e32 v16, v29, v16
	s_wait_alu 0xfffd
	v_cndmask_b32_e32 v10, v19, v10, vcc_lo
	v_cmp_gt_i32_e32 vcc_lo, 1, v13
	s_delay_alu instid0(VALU_DEP_2)
	v_and_b32_e32 v18, 7, v10
	s_wait_alu 0xfffd
	v_cndmask_b32_e32 v12, v21, v12, vcc_lo
	v_cmp_gt_i32_e32 vcc_lo, 1, v15
	v_lshrrev_b32_e32 v10, 2, v10
	v_cmp_eq_u32_e64 s0, 3, v18
	s_wait_alu 0xfffd
	v_cndmask_b32_e32 v14, v23, v14, vcc_lo
	v_cmp_gt_i32_e32 vcc_lo, 1, v17
	s_delay_alu instid0(VALU_DEP_2)
	v_and_b32_e32 v20, 7, v14
	s_wait_alu 0xfffd
	v_cndmask_b32_e32 v16, v25, v16, vcc_lo
	v_cmp_lt_i32_e32 vcc_lo, 5, v18
	v_lshrrev_b32_e32 v14, 2, v14
	v_cmp_lt_i32_e64 s3, 5, v20
	v_cmp_eq_u32_e64 s4, 3, v20
	s_or_b32 vcc_lo, s0, vcc_lo
	s_wait_alu 0xfffe
	v_add_co_ci_u32_e32 v10, vcc_lo, 0, v10, vcc_lo
	v_and_b32_e32 v19, 7, v12
	v_lshrrev_b32_e32 v12, 2, v12
	s_delay_alu instid0(VALU_DEP_2) | instskip(SKIP_1) | instid1(VALU_DEP_1)
	v_cmp_lt_i32_e64 s1, 5, v19
	v_cmp_eq_u32_e64 s2, 3, v19
	s_or_b32 vcc_lo, s2, s1
	s_wait_alu 0xfffe
	v_add_co_ci_u32_e32 v12, vcc_lo, 0, v12, vcc_lo
	s_or_b32 vcc_lo, s4, s3
	s_wait_alu 0xfffe
	v_add_co_ci_u32_e32 v14, vcc_lo, 0, v14, vcc_lo
	v_and_b32_e32 v21, 7, v16
	v_lshrrev_b32_e32 v16, 2, v16
	s_delay_alu instid0(VALU_DEP_2) | instskip(SKIP_1) | instid1(VALU_DEP_1)
	v_cmp_lt_i32_e64 s5, 5, v21
	v_cmp_eq_u32_e64 s6, 3, v21
	s_or_b32 vcc_lo, s6, s5
	s_wait_alu 0xfffe
	v_add_co_ci_u32_e32 v16, vcc_lo, 0, v16, vcc_lo
	v_cmp_gt_i32_e32 vcc_lo, 31, v11
	s_wait_alu 0xfffd
	v_cndmask_b32_e32 v10, 0x7c00, v10, vcc_lo
	v_cmp_gt_i32_e32 vcc_lo, 31, v13
	s_wait_alu 0xfffd
	v_cndmask_b32_e32 v12, 0x7c00, v12, vcc_lo
	;; [unrolled: 3-line block ×4, first 2 shown]
	v_cmp_eq_u32_e32 vcc_lo, 0x40f, v11
	s_wait_alu 0xfffd
	v_cndmask_b32_e32 v2, v10, v2, vcc_lo
	v_cmp_eq_u32_e32 vcc_lo, 0x40f, v15
	s_delay_alu instid0(VALU_DEP_2) | instskip(SKIP_3) | instid1(VALU_DEP_2)
	v_and_or_b32 v2, 0x8000, v3, v2
	s_wait_alu 0xfffd
	v_cndmask_b32_e32 v6, v14, v6, vcc_lo
	v_cmp_eq_u32_e32 vcc_lo, 0x40f, v13
	v_and_or_b32 v3, 0x8000, v7, v6
	s_wait_alu 0xfffd
	v_cndmask_b32_e32 v4, v12, v4, vcc_lo
	v_cmp_eq_u32_e32 vcc_lo, 0x40f, v17
	v_and_b32_e32 v6, 0xffff, v2
	v_and_b32_e32 v7, 0xffff, v3
	s_delay_alu instid0(VALU_DEP_4)
	v_and_or_b32 v4, 0x8000, v5, v4
	s_wait_alu 0xfffd
	v_cndmask_b32_e32 v8, v16, v8, vcc_lo
	v_add_co_u32 v0, vcc_lo, v0, s8
	s_wait_alu 0xfffd
	v_add_co_ci_u32_e32 v1, vcc_lo, s9, v1, vcc_lo
	s_delay_alu instid0(VALU_DEP_3) | instskip(NEXT) | instid1(VALU_DEP_3)
	v_and_or_b32 v5, 0x8000, v9, v8
	v_add_co_u32 v2, vcc_lo, v0, s10
	v_lshl_or_b32 v4, v4, 16, v6
	s_wait_alu 0xfffd
	v_add_co_ci_u32_e32 v3, vcc_lo, s11, v1, vcc_lo
	v_lshl_or_b32 v5, v5, 16, v7
	global_store_b32 v[0:1], v4, off
	global_store_b32 v[2:3], v5, off
.LBB0_23:
	s_nop 0
	s_sendmsg sendmsg(MSG_DEALLOC_VGPRS)
	s_endpgm
	.section	.rodata,"a",@progbits
	.p2align	6, 0x0
	.amdhsa_kernel bluestein_single_back_len1134_dim1_half_op_CI_CI
		.amdhsa_group_segment_fixed_size 4536
		.amdhsa_private_segment_fixed_size 0
		.amdhsa_kernarg_size 104
		.amdhsa_user_sgpr_count 2
		.amdhsa_user_sgpr_dispatch_ptr 0
		.amdhsa_user_sgpr_queue_ptr 0
		.amdhsa_user_sgpr_kernarg_segment_ptr 1
		.amdhsa_user_sgpr_dispatch_id 0
		.amdhsa_user_sgpr_private_segment_size 0
		.amdhsa_wavefront_size32 1
		.amdhsa_uses_dynamic_stack 0
		.amdhsa_enable_private_segment 0
		.amdhsa_system_sgpr_workgroup_id_x 1
		.amdhsa_system_sgpr_workgroup_id_y 0
		.amdhsa_system_sgpr_workgroup_id_z 0
		.amdhsa_system_sgpr_workgroup_info 0
		.amdhsa_system_vgpr_workitem_id 0
		.amdhsa_next_free_vgpr 152
		.amdhsa_next_free_sgpr 18
		.amdhsa_reserve_vcc 1
		.amdhsa_float_round_mode_32 0
		.amdhsa_float_round_mode_16_64 0
		.amdhsa_float_denorm_mode_32 3
		.amdhsa_float_denorm_mode_16_64 3
		.amdhsa_fp16_overflow 0
		.amdhsa_workgroup_processor_mode 1
		.amdhsa_memory_ordered 1
		.amdhsa_forward_progress 0
		.amdhsa_round_robin_scheduling 0
		.amdhsa_exception_fp_ieee_invalid_op 0
		.amdhsa_exception_fp_denorm_src 0
		.amdhsa_exception_fp_ieee_div_zero 0
		.amdhsa_exception_fp_ieee_overflow 0
		.amdhsa_exception_fp_ieee_underflow 0
		.amdhsa_exception_fp_ieee_inexact 0
		.amdhsa_exception_int_div_zero 0
	.end_amdhsa_kernel
	.text
.Lfunc_end0:
	.size	bluestein_single_back_len1134_dim1_half_op_CI_CI, .Lfunc_end0-bluestein_single_back_len1134_dim1_half_op_CI_CI
                                        ; -- End function
	.section	.AMDGPU.csdata,"",@progbits
; Kernel info:
; codeLenInByte = 19876
; NumSgprs: 20
; NumVgprs: 152
; ScratchSize: 0
; MemoryBound: 0
; FloatMode: 240
; IeeeMode: 1
; LDSByteSize: 4536 bytes/workgroup (compile time only)
; SGPRBlocks: 2
; VGPRBlocks: 18
; NumSGPRsForWavesPerEU: 20
; NumVGPRsForWavesPerEU: 152
; Occupancy: 9
; WaveLimiterHint : 1
; COMPUTE_PGM_RSRC2:SCRATCH_EN: 0
; COMPUTE_PGM_RSRC2:USER_SGPR: 2
; COMPUTE_PGM_RSRC2:TRAP_HANDLER: 0
; COMPUTE_PGM_RSRC2:TGID_X_EN: 1
; COMPUTE_PGM_RSRC2:TGID_Y_EN: 0
; COMPUTE_PGM_RSRC2:TGID_Z_EN: 0
; COMPUTE_PGM_RSRC2:TIDIG_COMP_CNT: 0
	.text
	.p2alignl 7, 3214868480
	.fill 96, 4, 3214868480
	.type	__hip_cuid_54668b581866346a,@object ; @__hip_cuid_54668b581866346a
	.section	.bss,"aw",@nobits
	.globl	__hip_cuid_54668b581866346a
__hip_cuid_54668b581866346a:
	.byte	0                               ; 0x0
	.size	__hip_cuid_54668b581866346a, 1

	.ident	"AMD clang version 19.0.0git (https://github.com/RadeonOpenCompute/llvm-project roc-6.4.0 25133 c7fe45cf4b819c5991fe208aaa96edf142730f1d)"
	.section	".note.GNU-stack","",@progbits
	.addrsig
	.addrsig_sym __hip_cuid_54668b581866346a
	.amdgpu_metadata
---
amdhsa.kernels:
  - .args:
      - .actual_access:  read_only
        .address_space:  global
        .offset:         0
        .size:           8
        .value_kind:     global_buffer
      - .actual_access:  read_only
        .address_space:  global
        .offset:         8
        .size:           8
        .value_kind:     global_buffer
      - .actual_access:  read_only
        .address_space:  global
        .offset:         16
        .size:           8
        .value_kind:     global_buffer
      - .actual_access:  read_only
        .address_space:  global
        .offset:         24
        .size:           8
        .value_kind:     global_buffer
      - .actual_access:  read_only
        .address_space:  global
        .offset:         32
        .size:           8
        .value_kind:     global_buffer
      - .offset:         40
        .size:           8
        .value_kind:     by_value
      - .address_space:  global
        .offset:         48
        .size:           8
        .value_kind:     global_buffer
      - .address_space:  global
        .offset:         56
        .size:           8
        .value_kind:     global_buffer
      - .address_space:  global
        .offset:         64
        .size:           8
        .value_kind:     global_buffer
      - .address_space:  global
        .offset:         72
        .size:           8
        .value_kind:     global_buffer
      - .offset:         80
        .size:           4
        .value_kind:     by_value
      - .address_space:  global
        .offset:         88
        .size:           8
        .value_kind:     global_buffer
      - .address_space:  global
        .offset:         96
        .size:           8
        .value_kind:     global_buffer
    .group_segment_fixed_size: 4536
    .kernarg_segment_align: 8
    .kernarg_segment_size: 104
    .language:       OpenCL C
    .language_version:
      - 2
      - 0
    .max_flat_workgroup_size: 126
    .name:           bluestein_single_back_len1134_dim1_half_op_CI_CI
    .private_segment_fixed_size: 0
    .sgpr_count:     20
    .sgpr_spill_count: 0
    .symbol:         bluestein_single_back_len1134_dim1_half_op_CI_CI.kd
    .uniform_work_group_size: 1
    .uses_dynamic_stack: false
    .vgpr_count:     152
    .vgpr_spill_count: 0
    .wavefront_size: 32
    .workgroup_processor_mode: 1
amdhsa.target:   amdgcn-amd-amdhsa--gfx1201
amdhsa.version:
  - 1
  - 2
...

	.end_amdgpu_metadata
